;; amdgpu-corpus repo=ROCm/rocFFT kind=compiled arch=gfx1201 opt=O3
	.text
	.amdgcn_target "amdgcn-amd-amdhsa--gfx1201"
	.amdhsa_code_object_version 6
	.protected	fft_rtc_fwd_len2040_factors_17_4_3_10_wgs_170_tpt_170_halfLds_half_ip_CI_unitstride_sbrr_dirReg ; -- Begin function fft_rtc_fwd_len2040_factors_17_4_3_10_wgs_170_tpt_170_halfLds_half_ip_CI_unitstride_sbrr_dirReg
	.globl	fft_rtc_fwd_len2040_factors_17_4_3_10_wgs_170_tpt_170_halfLds_half_ip_CI_unitstride_sbrr_dirReg
	.p2align	8
	.type	fft_rtc_fwd_len2040_factors_17_4_3_10_wgs_170_tpt_170_halfLds_half_ip_CI_unitstride_sbrr_dirReg,@function
fft_rtc_fwd_len2040_factors_17_4_3_10_wgs_170_tpt_170_halfLds_half_ip_CI_unitstride_sbrr_dirReg: ; @fft_rtc_fwd_len2040_factors_17_4_3_10_wgs_170_tpt_170_halfLds_half_ip_CI_unitstride_sbrr_dirReg
; %bb.0:
	s_clause 0x2
	s_load_b128 s[4:7], s[0:1], 0x0
	s_load_b64 s[8:9], s[0:1], 0x50
	s_load_b64 s[10:11], s[0:1], 0x18
	v_mul_u32_u24_e32 v1, 0x182, v0
	v_mov_b32_e32 v3, 0
	s_delay_alu instid0(VALU_DEP_2) | instskip(NEXT) | instid1(VALU_DEP_1)
	v_lshrrev_b32_e32 v1, 16, v1
	v_add_nc_u32_e32 v5, ttmp9, v1
	v_mov_b32_e32 v1, 0
	v_mov_b32_e32 v2, 0
	;; [unrolled: 1-line block ×3, first 2 shown]
	s_wait_kmcnt 0x0
	v_cmp_lt_u64_e64 s2, s[6:7], 2
	s_delay_alu instid0(VALU_DEP_1)
	s_and_b32 vcc_lo, exec_lo, s2
	s_cbranch_vccnz .LBB0_8
; %bb.1:
	s_load_b64 s[2:3], s[0:1], 0x10
	v_mov_b32_e32 v1, 0
	v_mov_b32_e32 v2, 0
	s_add_nc_u64 s[12:13], s[10:11], 8
	s_mov_b64 s[14:15], 1
	s_wait_kmcnt 0x0
	s_add_nc_u64 s[16:17], s[2:3], 8
	s_mov_b32 s3, 0
.LBB0_2:                                ; =>This Inner Loop Header: Depth=1
	s_load_b64 s[18:19], s[16:17], 0x0
                                        ; implicit-def: $vgpr7_vgpr8
	s_mov_b32 s2, exec_lo
	s_wait_kmcnt 0x0
	v_or_b32_e32 v4, s19, v6
	s_delay_alu instid0(VALU_DEP_1)
	v_cmpx_ne_u64_e32 0, v[3:4]
	s_wait_alu 0xfffe
	s_xor_b32 s20, exec_lo, s2
	s_cbranch_execz .LBB0_4
; %bb.3:                                ;   in Loop: Header=BB0_2 Depth=1
	s_cvt_f32_u32 s2, s18
	s_cvt_f32_u32 s21, s19
	s_sub_nc_u64 s[24:25], 0, s[18:19]
	s_wait_alu 0xfffe
	s_delay_alu instid0(SALU_CYCLE_1) | instskip(SKIP_1) | instid1(SALU_CYCLE_2)
	s_fmamk_f32 s2, s21, 0x4f800000, s2
	s_wait_alu 0xfffe
	v_s_rcp_f32 s2, s2
	s_delay_alu instid0(TRANS32_DEP_1) | instskip(SKIP_1) | instid1(SALU_CYCLE_2)
	s_mul_f32 s2, s2, 0x5f7ffffc
	s_wait_alu 0xfffe
	s_mul_f32 s21, s2, 0x2f800000
	s_wait_alu 0xfffe
	s_delay_alu instid0(SALU_CYCLE_2) | instskip(SKIP_1) | instid1(SALU_CYCLE_2)
	s_trunc_f32 s21, s21
	s_wait_alu 0xfffe
	s_fmamk_f32 s2, s21, 0xcf800000, s2
	s_cvt_u32_f32 s23, s21
	s_wait_alu 0xfffe
	s_delay_alu instid0(SALU_CYCLE_1) | instskip(SKIP_1) | instid1(SALU_CYCLE_2)
	s_cvt_u32_f32 s22, s2
	s_wait_alu 0xfffe
	s_mul_u64 s[26:27], s[24:25], s[22:23]
	s_wait_alu 0xfffe
	s_mul_hi_u32 s29, s22, s27
	s_mul_i32 s28, s22, s27
	s_mul_hi_u32 s2, s22, s26
	s_mul_i32 s30, s23, s26
	s_wait_alu 0xfffe
	s_add_nc_u64 s[28:29], s[2:3], s[28:29]
	s_mul_hi_u32 s21, s23, s26
	s_mul_hi_u32 s31, s23, s27
	s_add_co_u32 s2, s28, s30
	s_wait_alu 0xfffe
	s_add_co_ci_u32 s2, s29, s21
	s_mul_i32 s26, s23, s27
	s_add_co_ci_u32 s27, s31, 0
	s_wait_alu 0xfffe
	s_add_nc_u64 s[26:27], s[2:3], s[26:27]
	s_wait_alu 0xfffe
	v_add_co_u32 v4, s2, s22, s26
	s_delay_alu instid0(VALU_DEP_1) | instskip(SKIP_1) | instid1(VALU_DEP_1)
	s_cmp_lg_u32 s2, 0
	s_add_co_ci_u32 s23, s23, s27
	v_readfirstlane_b32 s22, v4
	s_wait_alu 0xfffe
	s_delay_alu instid0(VALU_DEP_1)
	s_mul_u64 s[24:25], s[24:25], s[22:23]
	s_wait_alu 0xfffe
	s_mul_hi_u32 s27, s22, s25
	s_mul_i32 s26, s22, s25
	s_mul_hi_u32 s2, s22, s24
	s_mul_i32 s28, s23, s24
	s_wait_alu 0xfffe
	s_add_nc_u64 s[26:27], s[2:3], s[26:27]
	s_mul_hi_u32 s21, s23, s24
	s_mul_hi_u32 s22, s23, s25
	s_wait_alu 0xfffe
	s_add_co_u32 s2, s26, s28
	s_add_co_ci_u32 s2, s27, s21
	s_mul_i32 s24, s23, s25
	s_add_co_ci_u32 s25, s22, 0
	s_wait_alu 0xfffe
	s_add_nc_u64 s[24:25], s[2:3], s[24:25]
	s_wait_alu 0xfffe
	v_add_co_u32 v4, s2, v4, s24
	s_delay_alu instid0(VALU_DEP_1) | instskip(SKIP_1) | instid1(VALU_DEP_1)
	s_cmp_lg_u32 s2, 0
	s_add_co_ci_u32 s2, s23, s25
	v_mul_hi_u32 v13, v5, v4
	s_wait_alu 0xfffe
	v_mad_co_u64_u32 v[7:8], null, v5, s2, 0
	v_mad_co_u64_u32 v[9:10], null, v6, v4, 0
	;; [unrolled: 1-line block ×3, first 2 shown]
	s_delay_alu instid0(VALU_DEP_3) | instskip(SKIP_1) | instid1(VALU_DEP_4)
	v_add_co_u32 v4, vcc_lo, v13, v7
	s_wait_alu 0xfffd
	v_add_co_ci_u32_e32 v7, vcc_lo, 0, v8, vcc_lo
	s_delay_alu instid0(VALU_DEP_2) | instskip(SKIP_1) | instid1(VALU_DEP_2)
	v_add_co_u32 v4, vcc_lo, v4, v9
	s_wait_alu 0xfffd
	v_add_co_ci_u32_e32 v4, vcc_lo, v7, v10, vcc_lo
	s_wait_alu 0xfffd
	v_add_co_ci_u32_e32 v7, vcc_lo, 0, v12, vcc_lo
	s_delay_alu instid0(VALU_DEP_2) | instskip(SKIP_1) | instid1(VALU_DEP_2)
	v_add_co_u32 v4, vcc_lo, v4, v11
	s_wait_alu 0xfffd
	v_add_co_ci_u32_e32 v9, vcc_lo, 0, v7, vcc_lo
	s_delay_alu instid0(VALU_DEP_2) | instskip(SKIP_1) | instid1(VALU_DEP_3)
	v_mul_lo_u32 v10, s19, v4
	v_mad_co_u64_u32 v[7:8], null, s18, v4, 0
	v_mul_lo_u32 v11, s18, v9
	s_delay_alu instid0(VALU_DEP_2) | instskip(NEXT) | instid1(VALU_DEP_2)
	v_sub_co_u32 v7, vcc_lo, v5, v7
	v_add3_u32 v8, v8, v11, v10
	s_delay_alu instid0(VALU_DEP_1) | instskip(SKIP_1) | instid1(VALU_DEP_1)
	v_sub_nc_u32_e32 v10, v6, v8
	s_wait_alu 0xfffd
	v_subrev_co_ci_u32_e64 v10, s2, s19, v10, vcc_lo
	v_add_co_u32 v11, s2, v4, 2
	s_wait_alu 0xf1ff
	v_add_co_ci_u32_e64 v12, s2, 0, v9, s2
	v_sub_co_u32 v13, s2, v7, s18
	v_sub_co_ci_u32_e32 v8, vcc_lo, v6, v8, vcc_lo
	s_wait_alu 0xf1ff
	v_subrev_co_ci_u32_e64 v10, s2, 0, v10, s2
	s_delay_alu instid0(VALU_DEP_3) | instskip(NEXT) | instid1(VALU_DEP_3)
	v_cmp_le_u32_e32 vcc_lo, s18, v13
	v_cmp_eq_u32_e64 s2, s19, v8
	s_wait_alu 0xfffd
	v_cndmask_b32_e64 v13, 0, -1, vcc_lo
	v_cmp_le_u32_e32 vcc_lo, s19, v10
	s_wait_alu 0xfffd
	v_cndmask_b32_e64 v14, 0, -1, vcc_lo
	v_cmp_le_u32_e32 vcc_lo, s18, v7
	;; [unrolled: 3-line block ×3, first 2 shown]
	s_wait_alu 0xfffd
	v_cndmask_b32_e64 v15, 0, -1, vcc_lo
	v_cmp_eq_u32_e32 vcc_lo, s19, v10
	s_wait_alu 0xf1ff
	s_delay_alu instid0(VALU_DEP_2)
	v_cndmask_b32_e64 v7, v15, v7, s2
	s_wait_alu 0xfffd
	v_cndmask_b32_e32 v10, v14, v13, vcc_lo
	v_add_co_u32 v13, vcc_lo, v4, 1
	s_wait_alu 0xfffd
	v_add_co_ci_u32_e32 v14, vcc_lo, 0, v9, vcc_lo
	s_delay_alu instid0(VALU_DEP_3) | instskip(SKIP_2) | instid1(VALU_DEP_3)
	v_cmp_ne_u32_e32 vcc_lo, 0, v10
	s_wait_alu 0xfffd
	v_cndmask_b32_e32 v10, v13, v11, vcc_lo
	v_cndmask_b32_e32 v8, v14, v12, vcc_lo
	v_cmp_ne_u32_e32 vcc_lo, 0, v7
	s_wait_alu 0xfffd
	s_delay_alu instid0(VALU_DEP_2)
	v_dual_cndmask_b32 v7, v4, v10 :: v_dual_cndmask_b32 v8, v9, v8
.LBB0_4:                                ;   in Loop: Header=BB0_2 Depth=1
	s_wait_alu 0xfffe
	s_and_not1_saveexec_b32 s2, s20
	s_cbranch_execz .LBB0_6
; %bb.5:                                ;   in Loop: Header=BB0_2 Depth=1
	v_cvt_f32_u32_e32 v4, s18
	s_sub_co_i32 s20, 0, s18
	s_delay_alu instid0(VALU_DEP_1) | instskip(NEXT) | instid1(TRANS32_DEP_1)
	v_rcp_iflag_f32_e32 v4, v4
	v_mul_f32_e32 v4, 0x4f7ffffe, v4
	s_delay_alu instid0(VALU_DEP_1) | instskip(SKIP_1) | instid1(VALU_DEP_1)
	v_cvt_u32_f32_e32 v4, v4
	s_wait_alu 0xfffe
	v_mul_lo_u32 v7, s20, v4
	s_delay_alu instid0(VALU_DEP_1) | instskip(NEXT) | instid1(VALU_DEP_1)
	v_mul_hi_u32 v7, v4, v7
	v_add_nc_u32_e32 v4, v4, v7
	s_delay_alu instid0(VALU_DEP_1) | instskip(NEXT) | instid1(VALU_DEP_1)
	v_mul_hi_u32 v4, v5, v4
	v_mul_lo_u32 v7, v4, s18
	v_add_nc_u32_e32 v8, 1, v4
	s_delay_alu instid0(VALU_DEP_2) | instskip(NEXT) | instid1(VALU_DEP_1)
	v_sub_nc_u32_e32 v7, v5, v7
	v_subrev_nc_u32_e32 v9, s18, v7
	v_cmp_le_u32_e32 vcc_lo, s18, v7
	s_wait_alu 0xfffd
	s_delay_alu instid0(VALU_DEP_2) | instskip(NEXT) | instid1(VALU_DEP_1)
	v_dual_cndmask_b32 v7, v7, v9 :: v_dual_cndmask_b32 v4, v4, v8
	v_cmp_le_u32_e32 vcc_lo, s18, v7
	s_delay_alu instid0(VALU_DEP_2) | instskip(SKIP_1) | instid1(VALU_DEP_1)
	v_add_nc_u32_e32 v8, 1, v4
	s_wait_alu 0xfffd
	v_dual_cndmask_b32 v7, v4, v8 :: v_dual_mov_b32 v8, v3
.LBB0_6:                                ;   in Loop: Header=BB0_2 Depth=1
	s_wait_alu 0xfffe
	s_or_b32 exec_lo, exec_lo, s2
	s_load_b64 s[20:21], s[12:13], 0x0
	s_delay_alu instid0(VALU_DEP_1)
	v_mul_lo_u32 v4, v8, s18
	v_mul_lo_u32 v11, v7, s19
	v_mad_co_u64_u32 v[9:10], null, v7, s18, 0
	s_add_nc_u64 s[14:15], s[14:15], 1
	s_add_nc_u64 s[12:13], s[12:13], 8
	s_wait_alu 0xfffe
	v_cmp_ge_u64_e64 s2, s[14:15], s[6:7]
	s_add_nc_u64 s[16:17], s[16:17], 8
	s_delay_alu instid0(VALU_DEP_2) | instskip(NEXT) | instid1(VALU_DEP_3)
	v_add3_u32 v4, v10, v11, v4
	v_sub_co_u32 v5, vcc_lo, v5, v9
	s_wait_alu 0xfffd
	s_delay_alu instid0(VALU_DEP_2) | instskip(SKIP_3) | instid1(VALU_DEP_2)
	v_sub_co_ci_u32_e32 v4, vcc_lo, v6, v4, vcc_lo
	s_and_b32 vcc_lo, exec_lo, s2
	s_wait_kmcnt 0x0
	v_mul_lo_u32 v6, s21, v5
	v_mul_lo_u32 v4, s20, v4
	v_mad_co_u64_u32 v[1:2], null, s20, v5, v[1:2]
	s_delay_alu instid0(VALU_DEP_1)
	v_add3_u32 v2, v6, v2, v4
	s_wait_alu 0xfffe
	s_cbranch_vccnz .LBB0_9
; %bb.7:                                ;   in Loop: Header=BB0_2 Depth=1
	v_dual_mov_b32 v5, v7 :: v_dual_mov_b32 v6, v8
	s_branch .LBB0_2
.LBB0_8:
	v_dual_mov_b32 v8, v6 :: v_dual_mov_b32 v7, v5
.LBB0_9:
	s_lshl_b64 s[2:3], s[6:7], 3
	v_mul_hi_u32 v3, 0x1818182, v0
	s_wait_alu 0xfffe
	s_add_nc_u64 s[2:3], s[10:11], s[2:3]
	v_mov_b32_e32 v38, 0
	s_load_b64 s[2:3], s[2:3], 0x0
	s_load_b64 s[0:1], s[0:1], 0x20
	v_mov_b32_e32 v14, 0
                                        ; implicit-def: $vgpr25
                                        ; implicit-def: $vgpr28
                                        ; implicit-def: $vgpr24
                                        ; implicit-def: $vgpr29
                                        ; implicit-def: $vgpr23
                                        ; implicit-def: $vgpr22
                                        ; implicit-def: $vgpr26
                                        ; implicit-def: $vgpr21
                                        ; implicit-def: $vgpr27
                                        ; implicit-def: $vgpr20
                                        ; implicit-def: $vgpr9
                                        ; implicit-def: $vgpr19
                                        ; implicit-def: $vgpr18
                                        ; implicit-def: $vgpr6
                                        ; implicit-def: $vgpr32
                                        ; implicit-def: $vgpr16
                                        ; implicit-def: $vgpr30
                                        ; implicit-def: $vgpr15
                                        ; implicit-def: $vgpr31
                                        ; implicit-def: $vgpr10
                                        ; implicit-def: $vgpr37
                                        ; implicit-def: $vgpr11
                                        ; implicit-def: $vgpr36
                                        ; implicit-def: $vgpr12
                                        ; implicit-def: $vgpr35
                                        ; implicit-def: $vgpr13
                                        ; implicit-def: $vgpr34
                                        ; implicit-def: $vgpr17
                                        ; implicit-def: $vgpr33
	s_delay_alu instid0(VALU_DEP_3) | instskip(NEXT) | instid1(VALU_DEP_1)
	v_mul_u32_u24_e32 v3, 0xaa, v3
	v_sub_nc_u32_e32 v0, v0, v3
	s_wait_kmcnt 0x0
	v_mul_lo_u32 v4, s2, v8
	v_mul_lo_u32 v5, s3, v7
	v_mad_co_u64_u32 v[1:2], null, s2, v7, v[1:2]
	v_cmp_gt_u64_e32 vcc_lo, s[0:1], v[7:8]
	v_cmp_gt_u32_e64 s0, 0x78, v0
                                        ; implicit-def: $vgpr7
	s_delay_alu instid0(VALU_DEP_1) | instskip(NEXT) | instid1(VALU_DEP_3)
	s_and_b32 s1, vcc_lo, s0
	v_add3_u32 v2, v5, v2, v4
	s_delay_alu instid0(VALU_DEP_1)
	v_lshlrev_b64_e32 v[2:3], 2, v[1:2]
                                        ; implicit-def: $vgpr1
	s_wait_alu 0xfffe
	s_and_saveexec_b32 s2, s1
	s_cbranch_execz .LBB0_11
; %bb.10:
	v_mov_b32_e32 v1, 0
	s_delay_alu instid0(VALU_DEP_1) | instskip(SKIP_3) | instid1(VALU_DEP_2)
	v_lshlrev_b64_e32 v[4:5], 2, v[0:1]
	v_add_co_u32 v1, s1, s8, v2
	s_wait_alu 0xf1ff
	v_add_co_ci_u32_e64 v6, s1, s9, v3, s1
	v_add_co_u32 v4, s1, v1, v4
	s_wait_alu 0xf1ff
	s_delay_alu instid0(VALU_DEP_2)
	v_add_co_ci_u32_e64 v5, s1, v6, v5, s1
	s_clause 0x10
	global_load_b32 v38, v[4:5], off
	global_load_b32 v28, v[4:5], off offset:480
	global_load_b32 v29, v[4:5], off offset:960
	;; [unrolled: 1-line block ×16, first 2 shown]
	s_wait_loadcnt 0xf
	v_lshrrev_b32_e32 v25, 16, v28
	s_wait_loadcnt 0xe
	v_lshrrev_b32_e32 v24, 16, v29
	;; [unrolled: 2-line block ×15, first 2 shown]
	s_wait_loadcnt 0x0
	v_perm_b32 v14, v38, v32, 0x7060302
.LBB0_11:
	s_wait_alu 0xfffe
	s_or_b32 exec_lo, exec_lo, s2
	v_add_f16_e32 v44, v28, v37
	v_sub_f16_e32 v51, v25, v10
	v_add_f16_e32 v45, v29, v36
	v_sub_f16_e32 v52, v24, v11
	v_add_f16_e32 v46, v1, v35
	v_mul_f16_e32 v78, 0xb461, v44
	v_sub_f16_e32 v54, v23, v12
	v_mul_f16_e32 v77, 0xbacd, v45
	v_add_f16_e32 v47, v26, v34
	v_mul_f16_e32 v76, 0x39e9, v46
	v_fmamk_f16 v4, v51, 0xbbb2, v78
	v_sub_f16_e32 v56, v22, v13
	v_fmamk_f16 v5, v52, 0x3836, v77
	v_add_f16_e32 v49, v27, v33
	v_mul_f16_e32 v75, 0x3722, v47
	v_add_f16_e32 v4, v38, v4
	v_fmamk_f16 v8, v54, 0x3964, v76
	v_sub_f16_e32 v58, v21, v17
	v_add_f16_e32 v50, v9, v31
	v_mul_f16_e32 v69, 0xbbdd, v49
	v_add_f16_e32 v4, v4, v5
	v_fmamk_f16 v5, v56, 0xbb29, v75
	v_sub_f16_e32 v62, v20, v15
	;; [unrolled: 5-line block ×3, first 2 shown]
	v_mul_f16_e32 v67, 0x3b76, v53
	v_pk_mul_f16 v72, 0x3b7639e9, v44 op_sel_hi:[1,0]
	v_add_f16_e32 v4, v4, v5
	v_fmamk_f16 v5, v62, 0x3bf7, v68
	v_pk_mul_f16 v59, 0x37222de8, v44 op_sel_hi:[1,0]
	v_pk_mul_f16 v71, 0x39e92de8, v45 op_sel_hi:[1,0]
	v_pk_fma_f16 v39, 0xb5c8b964, v51, v72 op_sel_hi:[1,0,1]
	v_add_f16_e32 v4, v4, v8
	v_fmamk_f16 v8, v63, 0xb5c8, v67
	v_pk_mul_f16 v55, 0xb8d2bbdd, v45 op_sel_hi:[1,0]
	v_pk_mul_f16 v74, 0x3722b8d2, v46 op_sel_hi:[1,0]
	v_pk_fma_f16 v40, 0xb964bbf7, v52, v71 op_sel_hi:[1,0,1]
	v_add_f16_e32 v4, v5, v4
	v_pk_fma_f16 v5, 0xbb29bbf7, v51, v59 op_sel_hi:[1,0,1]
	v_pk_add_f16 v39, v38, v39 op_sel_hi:[0,1]
	v_pk_mul_f16 v48, 0xbbddb461, v46 op_sel_hi:[1,0]
	v_pk_mul_f16 v73, 0x2de8bbdd, v47 op_sel_hi:[1,0]
	v_add_f16_e32 v8, v8, v4
	v_pk_add_f16 v4, v38, v5 op_sel_hi:[0,1]
	v_pk_fma_f16 v5, 0xba62b1e1, v52, v55 op_sel_hi:[1,0,1]
	v_pk_add_f16 v39, v39, v40
	v_pk_fma_f16 v40, 0xbb29ba62, v54, v74 op_sel_hi:[1,0,1]
	v_pk_mul_f16 v43, 0xb4613b76, v47 op_sel_hi:[1,0]
	v_pk_mul_f16 v70, 0xb461bacd, v49 op_sel_hi:[1,0]
	v_pk_add_f16 v4, v4, v5
	v_pk_fma_f16 v5, 0x31e13bb2, v54, v48 op_sel_hi:[1,0,1]
	v_pk_add_f16 v39, v39, v40
	v_pk_fma_f16 v40, 0xbbf7b1e1, v56, v73 op_sel_hi:[1,0,1]
	v_pk_mul_f16 v42, 0x39e93722, v49 op_sel_hi:[1,0]
	v_pk_mul_f16 v65, 0xb8d2b461, v50 op_sel_hi:[1,0]
	v_pk_add_f16 v4, v4, v5
	v_pk_fma_f16 v5, 0x3bb235c8, v56, v43 op_sel_hi:[1,0,1]
	v_pk_add_f16 v39, v39, v40
	v_pk_fma_f16 v40, 0xbbb23836, v58, v70 op_sel_hi:[1,0,1]
	v_pk_mul_f16 v41, 0x3b76bacd, v50 op_sel_hi:[1,0]
	v_add_f16_e32 v57, v6, v32
	v_pk_add_f16 v4, v4, v5
	v_pk_fma_f16 v5, 0x3964bb29, v58, v42 op_sel_hi:[1,0,1]
	v_pk_add_f16 v39, v39, v40
	v_pk_fma_f16 v60, 0xba623bb2, v62, v65 op_sel_hi:[1,0,1]
	v_pk_mul_f16 v64, 0xbacd3722, v53 op_sel_hi:[1,0]
	v_pk_mul_f16 v40, 0x2de8b8d2, v53 op_sel_hi:[1,0]
	v_pk_add_f16 v4, v4, v5
	v_pk_fma_f16 v5, 0xb5c8b836, v62, v41 op_sel_hi:[1,0,1]
	v_sub_f16_e32 v61, v18, v14
	v_pk_add_f16 v79, v60, v39
	v_pk_fma_f16 v80, 0xb8363b29, v63, v64 op_sel_hi:[1,0,1]
	v_pk_mul_f16 v60, 0xbbdd3b76, v57 op_sel_hi:[1,0]
	v_pk_add_f16 v4, v5, v4
	v_pk_fma_f16 v5, 0xbbf73a62, v63, v40 op_sel_hi:[1,0,1]
	v_pk_mul_f16 v39, 0xbacd39e9, v57 op_sel_hi:[1,0]
	v_mul_f16_e32 v66, 0xb8d2, v57
	v_pk_add_f16 v79, v80, v79
	v_pk_fma_f16 v80, 0xb1e135c8, v61, v60 op_sel_hi:[1,0,1]
	v_pk_add_f16 v4, v5, v4
	v_pk_fma_f16 v81, 0xb8363964, v61, v39 op_sel_hi:[1,0,1]
	v_fmamk_f16 v82, v61, 0xba62, v66
	s_delay_alu instid0(VALU_DEP_4) | instskip(NEXT) | instid1(VALU_DEP_3)
	v_pk_add_f16 v5, v80, v79
	v_pk_add_f16 v4, v81, v4
	s_delay_alu instid0(VALU_DEP_3)
	v_add_f16_e32 v8, v82, v8
	s_and_saveexec_b32 s1, s0
	s_cbranch_execz .LBB0_13
; %bb.12:
	v_mul_f16_e32 v79, 0xb1e1, v51
	v_mul_f16_e32 v85, 0x35c8, v52
	;; [unrolled: 1-line block ×3, first 2 shown]
	v_pack_b32_f16 v82, v44, v44
	v_pack_b32_f16 v83, v51, v51
	v_fma_f16 v84, v44, 0xbbdd, -v79
	v_fma_f16 v89, v45, 0x3b76, -v85
	v_mul_f16_e32 v94, 0x3964, v56
	v_pack_b32_f16 v86, v45, v45
	v_pack_b32_f16 v87, v52, v52
	v_add_f16_e32 v84, v38, v84
	v_mul_f16_e32 v98, 0xba62, v58
	v_pk_mul_f16 v100, 0xbacdb8d2, v82
	v_pk_mul_f16 v83, 0xb836ba62, v83
	v_pack_b32_f16 v88, v46, v46
	v_add_f16_e32 v84, v84, v89
	v_fma_f16 v89, v46, 0xbacd, -v90
	v_pack_b32_f16 v91, v54, v54
	v_mul_f16_e32 v101, 0x3b29, v62
	v_pk_mul_f16 v102, 0x3722b461, v86
	v_add_f16_e32 v103, v83, v100
	v_add_f16_e32 v84, v84, v89
	v_fma_f16 v89, v47, 0x39e9, -v94
	v_pk_mul_f16 v87, 0x3b293bb2, v87
	v_pack_b32_f16 v92, v47, v47
	v_pack_b32_f16 v93, v56, v56
	v_pk_mul_f16 v104, 0x2de83b76, v88
	v_add_f16_e32 v84, v84, v89
	v_fma_f16 v89, v49, 0xb8d2, -v98
	v_add_f16_e32 v103, v38, v103
	v_add_f16_e32 v105, v87, v102
	v_pk_mul_f16 v91, 0xbbf7b5c8, v91
	v_pack_b32_f16 v95, v49, v49
	v_add_f16_e32 v84, v84, v89
	v_fma_f16 v89, v50, 0x3722, -v101
	v_pack_b32_f16 v96, v58, v58
	v_add_f16_e32 v103, v103, v105
	v_add_f16_e32 v105, v91, v104
	v_pk_mul_f16 v93, 0x3a62b836, v93
	v_add_f16_e32 v84, v89, v84
	v_pk_mul_f16 v89, 0xb8d2bacd, v92
	v_mul_f16_e32 v80, 0xbbb2, v51
	v_mul_f16_e32 v106, 0xbbb2, v63
	v_pk_mul_f16 v108, 0x3b762de8, v95
	v_pk_mul_f16 v96, 0xb5c83bf7, v96
	v_add_f16_e32 v103, v103, v105
	v_add_f16_e32 v105, v93, v89
	v_mul_f16_e32 v81, 0x3836, v52
	v_pack_b32_f16 v97, v50, v50
	v_pack_b32_f16 v99, v62, v62
	v_fma_f16 v107, v53, 0xb461, -v106
	v_sub_f16_e32 v78, v78, v80
	v_add_f16_e32 v103, v103, v105
	v_add_f16_e32 v105, v96, v108
	v_mul_f16_e32 v80, 0x3bf7, v61
	v_add_f16_e32 v84, v107, v84
	v_pk_mul_f16 v107, 0xbbdd39e9, v97
	v_add_f16_e32 v78, v38, v78
	v_sub_f16_e32 v77, v77, v81
	v_pk_mul_f16 v81, 0xb1e1b964, v99
	v_mul_f16_e32 v99, 0x3964, v54
	v_add_f16_e32 v103, v103, v105
	v_pack_b32_f16 v105, v53, v53
	v_pack_b32_f16 v109, v63, v63
	v_fma_f16 v110, v57, 0x2de8, -v80
	v_add_f16_e32 v77, v78, v77
	v_add_f16_e32 v78, v81, v107
	v_pk_mul_f16 v111, 0x39e9bbdd, v105
	v_pk_mul_f16 v109, 0x3964b1e1, v109
	v_sub_f16_e32 v76, v76, v99
	v_mul_f16_e32 v99, 0xbb29, v56
	v_add_f16_e32 v84, v110, v84
	v_add_f16_e32 v78, v78, v103
	;; [unrolled: 1-line block ×4, first 2 shown]
	v_pack_b32_f16 v77, v61, v61
	v_pack_b32_f16 v110, v57, v57
	v_sub_f16_e32 v75, v75, v99
	v_add_f16_e32 v78, v103, v78
	v_mul_f16_e32 v99, 0xb1e1, v58
	v_pk_mul_f16 v77, 0xbbb23b29, v77
	v_pk_mul_f16 v103, 0xb4613722, v110
	v_add_f16_e32 v75, v76, v75
	v_add_f16_e32 v76, v38, v28
	v_sub_f16_e32 v69, v69, v99
	v_pk_mul_f16 v112, 0xb5c8b964, v51 op_sel_hi:[1,0]
	v_add_f16_e32 v99, v77, v103
	v_pk_mul_f16 v51, 0xbb29bbf7, v51 op_sel_hi:[1,0]
	v_add_f16_e32 v76, v76, v29
	v_add_f16_e32 v69, v75, v69
	v_pk_add_f16 v72, v72, v112 neg_lo:[0,1] neg_hi:[0,1]
	v_add_f16_e32 v78, v99, v78
	v_mul_f16_e32 v99, 0x3bf7, v62
	v_add_f16_e32 v76, v76, v1
	v_pk_mul_f16 v112, 0xb964bbf7, v52 op_sel_hi:[1,0]
	v_perm_b32 v38, v38, v38, 0x5040100
	v_pk_mul_f16 v52, 0xba62b1e1, v52 op_sel_hi:[1,0]
	v_sub_f16_e32 v68, v68, v99
	v_add_f16_e32 v75, v76, v26
	v_pk_add_f16 v51, v59, v51 neg_lo:[0,1] neg_hi:[0,1]
	v_pk_add_f16 v71, v71, v112 neg_lo:[0,1] neg_hi:[0,1]
	v_pk_add_f16 v72, v38, v72
	v_add_f16_e32 v68, v68, v69
	v_add_f16_e32 v69, v75, v27
	v_pk_mul_f16 v112, 0xbb29ba62, v54 op_sel_hi:[1,0]
	v_pk_mul_f16 v54, 0x31e13bb2, v54 op_sel_hi:[1,0]
	v_mul_f16_e32 v44, 0xbbdd, v44
	v_pk_add_f16 v51, v38, v51
	v_add_f16_e32 v69, v69, v9
	v_pk_add_f16 v52, v55, v52 neg_lo:[0,1] neg_hi:[0,1]
	v_pk_add_f16 v71, v72, v71
	v_pk_add_f16 v72, v74, v112 neg_lo:[0,1] neg_hi:[0,1]
	v_pk_mul_f16 v74, 0xbbf7b1e1, v56 op_sel_hi:[1,0]
	v_add_f16_e32 v69, v69, v7
	v_pk_mul_f16 v56, 0x3bb235c8, v56 op_sel_hi:[1,0]
	v_mul_f16_e32 v45, 0x3b76, v45
	v_pk_add_f16 v51, v51, v52
	v_pk_add_f16 v48, v48, v54 neg_lo:[0,1] neg_hi:[0,1]
	v_bfi_b32 v54, 0xffff, v79, v83
	v_bfi_b32 v44, 0xffff, v44, v100
	v_add_f16_e32 v69, v69, v6
	v_mul_f16_e32 v46, 0xbacd, v46
	v_pk_add_f16 v48, v51, v48
	v_pk_add_f16 v43, v43, v56 neg_lo:[0,1] neg_hi:[0,1]
	v_pk_fma_f16 v51, 0xbacdb8d2, v82, v83 neg_lo:[0,0,1] neg_hi:[0,0,1]
	v_pk_add_f16 v44, v54, v44
	v_bfi_b32 v54, 0xffff, v85, v87
	v_bfi_b32 v45, 0xffff, v45, v102
	v_add_f16_e32 v69, v69, v32
	v_pk_add_f16 v71, v71, v72
	v_pk_add_f16 v72, v73, v74 neg_lo:[0,1] neg_hi:[0,1]
	v_pk_mul_f16 v73, 0xbbb23836, v58 op_sel_hi:[1,0]
	v_pk_mul_f16 v58, 0x3964bb29, v58 op_sel_hi:[1,0]
	v_mul_f16_e32 v47, 0x39e9, v47
	v_pk_add_f16 v43, v48, v43
	v_pk_add_f16 v48, v38, v51
	v_pk_fma_f16 v51, 0x3722b461, v86, v87 neg_lo:[0,0,1] neg_hi:[0,0,1]
	v_pk_add_f16 v38, v38, v44
	v_pk_add_f16 v44, v54, v45
	v_bfi_b32 v45, 0xffff, v90, v91
	v_bfi_b32 v46, 0xffff, v46, v104
	v_add_f16_e32 v69, v69, v30
	v_mul_f16_e32 v49, 0xb8d2, v49
	v_pk_add_f16 v42, v42, v58 neg_lo:[0,1] neg_hi:[0,1]
	v_pk_add_f16 v48, v48, v51
	v_pk_fma_f16 v51, 0x2de83b76, v88, v91 neg_lo:[0,0,1] neg_hi:[0,0,1]
	v_pk_add_f16 v38, v38, v44
	v_pk_add_f16 v44, v45, v46
	v_bfi_b32 v45, 0xffff, v94, v93
	v_bfi_b32 v46, 0xffff, v47, v89
	v_mul_f16_e32 v75, 0xb5c8, v63
	v_pk_add_f16 v71, v71, v72
	v_pk_add_f16 v70, v70, v73 neg_lo:[0,1] neg_hi:[0,1]
	v_add_f16_e32 v69, v69, v31
	v_pk_mul_f16 v74, 0xba623bb2, v62 op_sel_hi:[1,0]
	v_pk_mul_f16 v62, 0xb5c8b836, v62 op_sel_hi:[1,0]
	v_mul_f16_e32 v50, 0x3722, v50
	v_pk_add_f16 v42, v43, v42
	v_pk_add_f16 v43, v48, v51
	v_pk_fma_f16 v47, 0xb8d2bacd, v92, v93 neg_lo:[0,0,1] neg_hi:[0,0,1]
	v_pk_add_f16 v38, v38, v44
	v_pk_add_f16 v44, v45, v46
	v_bfi_b32 v45, 0xffff, v98, v96
	v_bfi_b32 v46, 0xffff, v49, v108
	v_sub_f16_e32 v67, v67, v75
	v_pk_mul_f16 v73, 0xb1e135c8, v61 op_sel_hi:[1,0]
	v_pk_add_f16 v70, v71, v70
	v_pk_mul_f16 v71, 0xb8363964, v61 op_sel_hi:[1,0]
	v_mul_f16_e32 v61, 0xba62, v61
	v_add_f16_e32 v69, v69, v33
	v_mul_f16_e32 v53, 0xb461, v53
	v_pk_add_f16 v41, v41, v62 neg_lo:[0,1] neg_hi:[0,1]
	v_pk_add_f16 v43, v43, v47
	v_pk_fma_f16 v47, 0x3b762de8, v95, v96 neg_lo:[0,0,1] neg_hi:[0,0,1]
	v_pk_add_f16 v38, v38, v44
	v_pk_add_f16 v44, v45, v46
	v_bfi_b32 v45, 0xffff, v101, v81
	v_bfi_b32 v46, 0xffff, v50, v107
	v_pk_mul_f16 v72, 0xb8363b29, v63 op_sel_hi:[1,0]
	v_pk_mul_f16 v63, 0xbbf73a62, v63 op_sel_hi:[1,0]
	v_pk_add_f16 v65, v65, v74 neg_lo:[0,1] neg_hi:[0,1]
	v_add_f16_e32 v67, v67, v68
	v_sub_f16_e32 v59, v66, v61
	v_add_f16_e32 v61, v34, v69
	v_mul_f16_e32 v57, 0x2de8, v57
	v_pk_add_f16 v41, v41, v42
	v_pk_add_f16 v42, v43, v47
	v_pk_fma_f16 v43, 0xbbdd39e9, v97, v81 neg_lo:[0,0,1] neg_hi:[0,0,1]
	v_pk_add_f16 v38, v38, v44
	v_pk_add_f16 v44, v45, v46
	v_bfi_b32 v45, 0xffff, v106, v109
	v_bfi_b32 v46, 0xffff, v53, v111
	v_pk_add_f16 v65, v65, v70
	v_pk_add_f16 v64, v64, v72 neg_lo:[0,1] neg_hi:[0,1]
	v_add_f16_e32 v55, v59, v67
	v_add_f16_e32 v59, v35, v61
	v_pk_add_f16 v40, v40, v63 neg_lo:[0,1] neg_hi:[0,1]
	v_pk_add_f16 v42, v43, v42
	v_pk_fma_f16 v43, 0x39e9bbdd, v105, v109 neg_lo:[0,0,1] neg_hi:[0,0,1]
	v_pk_add_f16 v38, v44, v38
	v_pk_add_f16 v44, v45, v46
	v_bfi_b32 v45, 0xffff, v80, v77
	v_bfi_b32 v46, 0xffff, v57, v103
	v_pk_add_f16 v61, v64, v65
	v_pk_add_f16 v60, v60, v73 neg_lo:[0,1] neg_hi:[0,1]
	v_add_f16_e32 v52, v36, v59
	v_pk_add_f16 v40, v40, v41
	v_pk_add_f16 v39, v39, v71 neg_lo:[0,1] neg_hi:[0,1]
	v_pk_add_f16 v41, v43, v42
	v_pk_add_f16 v38, v44, v38
	;; [unrolled: 1-line block ×4, first 2 shown]
	v_pk_fma_f16 v43, 0xb4613722, v110, v77 neg_lo:[0,0,1] neg_hi:[0,0,1]
	v_pk_add_f16 v40, v39, v40
	v_add_f16_e32 v44, v37, v52
	v_pk_add_f16 v42, v42, v38
	v_mad_u32_u24 v45, v0, 34, 0
	v_pk_add_f16 v41, v43, v41
	v_bfi_b32 v39, 0xffff, v59, v40
	v_pack_b32_f16 v40, v40, v55
	v_bfi_b32 v38, 0xffff, v44, v59
	v_alignbit_b32 v43, v78, v42, 16
	v_pack_b32_f16 v42, v84, v42
	ds_store_b128 v45, v[38:41]
	ds_store_b64 v45, v[42:43] offset:16
	ds_store_b16 v45, v8 offset:24
	ds_store_b64 v45, v[4:5] offset:26
.LBB0_13:
	s_wait_alu 0xfffe
	s_or_b32 exec_lo, exec_lo, s1
	v_sub_f16_e32 v71, v28, v37
	v_add_f16_e32 v50, v25, v10
	v_sub_f16_e32 v69, v29, v36
	v_add_f16_e32 v48, v24, v11
	v_sub_f16_e32 v73, v1, v35
	v_pk_mul_f16 v60, 0xb5c8b964, v71 op_sel_hi:[1,0]
	v_add_f16_e32 v49, v23, v12
	v_pk_mul_f16 v61, 0xb964bbf7, v69 op_sel_hi:[1,0]
	v_sub_f16_e32 v72, v26, v34
	v_pk_mul_f16 v64, 0xbb29ba62, v73 op_sel_hi:[1,0]
	v_pk_fma_f16 v1, 0x3b7639e9, v50, v60 op_sel_hi:[1,0,1] neg_lo:[0,0,1] neg_hi:[0,0,1]
	v_add_f16_e32 v52, v22, v13
	v_pk_fma_f16 v26, 0x39e92de8, v48, v61 op_sel_hi:[1,0,1] neg_lo:[0,0,1] neg_hi:[0,0,1]
	v_sub_f16_e32 v74, v27, v33
	v_sub_f16_e32 v75, v9, v31
	v_pk_add_f16 v1, v14, v1 op_sel:[1,0]
	v_pk_mul_f16 v67, 0xbbf7b1e1, v72 op_sel_hi:[1,0]
	v_pk_fma_f16 v9, 0x3722b8d2, v49, v64 op_sel_hi:[1,0,1] neg_lo:[0,0,1] neg_hi:[0,0,1]
	v_add_f16_e32 v54, v21, v17
	v_sub_f16_e32 v76, v7, v30
	v_pk_add_f16 v1, v1, v26
	v_pk_mul_f16 v68, 0xbbb23836, v74 op_sel_hi:[1,0]
	v_pk_fma_f16 v7, 0x2de8bbdd, v52, v67 op_sel_hi:[1,0,1] neg_lo:[0,0,1] neg_hi:[0,0,1]
	v_add_f16_e32 v57, v20, v15
	v_sub_f16_e32 v77, v6, v32
	v_pk_add_f16 v1, v1, v9
	v_pk_mul_f16 v58, 0xba623bb2, v75 op_sel_hi:[1,0]
	v_pk_fma_f16 v6, 0xb461bacd, v54, v68 op_sel_hi:[1,0,1] neg_lo:[0,0,1] neg_hi:[0,0,1]
	v_pk_mul_f16 v46, 0xbb29bbf7, v71 op_sel_hi:[1,0]
	v_add_f16_e32 v63, v19, v16
	v_pk_add_f16 v1, v1, v7
	v_pk_mul_f16 v55, 0xb8363b29, v76 op_sel_hi:[1,0]
	v_pk_mul_f16 v45, 0xba62b1e1, v69 op_sel_hi:[1,0]
	v_pk_fma_f16 v7, 0xb8d2b461, v57, v58 op_sel_hi:[1,0,1] neg_lo:[0,0,1] neg_hi:[0,0,1]
	v_pk_mul_f16 v43, 0xba62bbb2, v71 op_sel_hi:[1,0]
	v_pk_add_f16 v1, v1, v6
	v_pk_fma_f16 v6, 0x37222de8, v50, v46 op_sel_hi:[1,0,1] neg_lo:[0,0,1] neg_hi:[0,0,1]
	v_pk_fma_f16 v9, 0xbacd3722, v63, v55 op_sel_hi:[1,0,1] neg_lo:[0,0,1] neg_hi:[0,0,1]
	;; [unrolled: 1-line block ×3, first 2 shown]
	v_pk_mul_f16 v59, 0x31e13bb2, v73 op_sel_hi:[1,0]
	v_pk_add_f16 v1, v7, v1
	v_pk_add_f16 v6, v14, v6 op_sel:[1,0]
	v_pk_mul_f16 v44, 0x3bb23836, v69 op_sel_hi:[1,0]
	v_pk_fma_f16 v7, 0xb8d2b461, v50, v43 op_sel_hi:[1,0,1] neg_lo:[0,0,1] neg_hi:[0,0,1]
	v_pk_mul_f16 v65, 0x3bb235c8, v72 op_sel_hi:[1,0]
	v_pk_add_f16 v9, v9, v1
	v_pk_add_f16 v1, v6, v26
	v_pk_fma_f16 v6, 0xbbddb461, v49, v59 op_sel_hi:[1,0,1] neg_lo:[0,0,1] neg_hi:[0,0,1]
	v_pk_add_f16 v7, v14, v7 op_sel:[1,0]
	v_pk_fma_f16 v26, 0xb461bacd, v48, v44 op_sel_hi:[1,0,1] neg_lo:[0,0,1] neg_hi:[0,0,1]
	v_pk_mul_f16 v47, 0xb5c83964, v73 op_sel_hi:[1,0]
	v_pk_mul_f16 v66, 0x3964bb29, v74 op_sel_hi:[1,0]
	v_pk_add_f16 v1, v1, v6
	v_pk_fma_f16 v6, 0xb4613b76, v52, v65 op_sel_hi:[1,0,1] neg_lo:[0,0,1] neg_hi:[0,0,1]
	v_pk_add_f16 v7, v7, v26
	v_pk_fma_f16 v26, 0x3b7639e9, v49, v47 op_sel_hi:[1,0,1] neg_lo:[0,0,1] neg_hi:[0,0,1]
	v_pk_mul_f16 v42, 0xb836bb29, v72 op_sel_hi:[1,0]
	v_pk_mul_f16 v56, 0xb5c8b836, v75 op_sel_hi:[1,0]
	v_pk_add_f16 v1, v1, v6
	v_pk_fma_f16 v6, 0x39e93722, v54, v66 op_sel_hi:[1,0,1] neg_lo:[0,0,1] neg_hi:[0,0,1]
	v_pk_add_f16 v7, v7, v26
	v_pk_fma_f16 v26, 0xbacd3722, v52, v42 op_sel_hi:[1,0,1] neg_lo:[0,0,1] neg_hi:[0,0,1]
	v_pk_mul_f16 v40, 0x3bf7b1e1, v74 op_sel_hi:[1,0]
	global_wb scope:SCOPE_SE
	s_wait_dscnt 0x0
	v_pk_add_f16 v1, v1, v6
	v_pk_fma_f16 v6, 0x3b76bacd, v57, v56 op_sel_hi:[1,0,1] neg_lo:[0,0,1] neg_hi:[0,0,1]
	v_pk_add_f16 v7, v7, v26
	v_pk_fma_f16 v26, 0x2de8bbdd, v54, v40 op_sel_hi:[1,0,1] neg_lo:[0,0,1] neg_hi:[0,0,1]
	s_barrier_signal -1
	s_barrier_wait -1
	v_pk_add_f16 v6, v6, v1
	v_lshl_add_u32 v1, v0, 1, 0
	v_pk_add_f16 v7, v7, v26
	global_inv scope:SCOPE_SE
	ds_load_u16 v28, v1
	ds_load_u16 v26, v1 offset:340
	ds_load_u16 v31, v1 offset:1360
	;; [unrolled: 1-line block ×11, first 2 shown]
	v_pk_mul_f16 v39, 0xb9643bf7, v75 op_sel_hi:[1,0]
	v_pk_mul_f16 v62, 0xbbf73a62, v76 op_sel_hi:[1,0]
	;; [unrolled: 1-line block ×3, first 2 shown]
	v_add_f16_e32 v51, v18, v14
	v_pk_mul_f16 v70, 0xb1e135c8, v77 op_sel_hi:[1,0]
	v_pk_fma_f16 v41, 0x39e92de8, v57, v39 op_sel_hi:[1,0,1] neg_lo:[0,0,1] neg_hi:[0,0,1]
	v_pk_fma_f16 v78, 0x2de8b8d2, v63, v62 op_sel_hi:[1,0,1] neg_lo:[0,0,1] neg_hi:[0,0,1]
	v_pk_mul_f16 v53, 0xb8363964, v77 op_sel_hi:[1,0]
	v_pk_fma_f16 v79, 0xbbdd3b76, v63, v38 op_sel_hi:[1,0,1] neg_lo:[0,0,1] neg_hi:[0,0,1]
	v_pk_fma_f16 v80, 0xbbdd3b76, v51, v70 op_sel_hi:[1,0,1] neg_lo:[0,0,1] neg_hi:[0,0,1]
	v_pk_add_f16 v7, v41, v7
	v_pk_mul_f16 v41, 0x3b29ba62, v77 op_sel_hi:[1,0]
	v_pk_add_f16 v6, v78, v6
	v_pk_fma_f16 v78, 0xbacd39e9, v51, v53 op_sel_hi:[1,0,1] neg_lo:[0,0,1] neg_hi:[0,0,1]
	global_wb scope:SCOPE_SE
	s_wait_dscnt 0x0
	v_pk_add_f16 v79, v79, v7
	v_pk_fma_f16 v81, 0x3722b8d2, v51, v41 op_sel_hi:[1,0,1] neg_lo:[0,0,1] neg_hi:[0,0,1]
	v_pk_add_f16 v7, v80, v9
	v_pk_add_f16 v6, v78, v6
	s_barrier_signal -1
	s_barrier_wait -1
	v_pk_add_f16 v9, v81, v79
	global_inv scope:SCOPE_SE
	s_and_saveexec_b32 s1, s0
	s_cbranch_execz .LBB0_15
; %bb.14:
	v_lshrrev_b32_e32 v78, 16, v14
	v_pk_mul_f16 v80, 0x3b7639e9, v50 op_sel_hi:[1,0]
	v_pk_mul_f16 v83, 0x39e92de8, v48 op_sel_hi:[1,0]
	v_bfi_b32 v18, 0xffff, v18, v60
	v_perm_b32 v81, v14, v14, 0x7060302
	v_add_f16_e32 v25, v78, v25
	v_pk_mul_f16 v86, 0x2de8bbdd, v52 op_sel_hi:[1,0]
	v_pk_add_f16 v61, v83, v61
	v_pack_b32_f16 v71, v71, v71
	v_pack_b32_f16 v85, v52, v52
	v_add_f16_e32 v24, v25, v24
	v_pk_mul_f16 v25, 0x3722b8d2, v49 op_sel_hi:[1,0]
	v_bfi_b32 v16, 0xffff, v16, v61
	v_pk_mul_f16 v87, 0xb461bacd, v54 op_sel_hi:[1,0]
	v_pack_b32_f16 v79, v50, v50
	v_add_f16_e32 v23, v24, v23
	v_pk_add_f16 v25, v25, v64
	v_pack_b32_f16 v82, v48, v48
	v_pack_b32_f16 v69, v69, v69
	;; [unrolled: 1-line block ×3, first 2 shown]
	v_add_f16_e32 v22, v23, v22
	v_bfi_b32 v15, 0xffff, v15, v25
	v_pack_b32_f16 v24, v72, v72
	v_pack_b32_f16 v72, v54, v54
	v_pk_mul_f16 v88, 0xb8d2b461, v57 op_sel_hi:[1,0]
	v_add_f16_e32 v21, v22, v21
	v_pk_mul_f16 v92, 0xb8d2bbdd, v48 op_sel_hi:[1,0]
	v_pk_mul_f16 v93, 0xbbddb461, v49 op_sel_hi:[1,0]
	;; [unrolled: 1-line block ×3, first 2 shown]
	v_pack_b32_f16 v73, v73, v73
	v_add_f16_e32 v20, v21, v20
	v_pack_b32_f16 v23, v57, v57
	v_pk_mul_f16 v95, 0x3b76bacd, v57 op_sel_hi:[1,0]
	v_pack_b32_f16 v90, v51, v51
	v_pk_mul_f16 v91, 0xbbdd3b76, v51 op_sel_hi:[1,0]
	v_add_f16_e32 v19, v20, v19
	v_pk_mul_f16 v20, 0xb4613b76, v52 op_sel_hi:[1,0]
	v_pack_b32_f16 v21, v77, v77
	v_pk_mul_f16 v77, 0x37222de8, v50 op_sel_hi:[1,0]
	v_pack_b32_f16 v74, v74, v74
	v_bfi_b32 v19, 0xffff, v19, v80
	v_pk_mul_f16 v80, 0xbacd39e9, v51 op_sel_hi:[1,0]
	v_pk_mul_f16 v22, 0xbacd3722, v63 op_sel_hi:[1,0]
	v_add_f16_e32 v46, v77, v46
	v_pack_b32_f16 v75, v75, v75
	v_pk_add_f16 v18, v19, v18
	v_pk_mul_f16 v19, 0xb461bacd, v48 op_sel_hi:[1,0]
	v_pk_mul_f16 v48, 0x3b7639e9, v49 op_sel_hi:[1,0]
	;; [unrolled: 1-line block ×3, first 2 shown]
	v_pk_add_f16 v54, v87, v68
	v_pk_add_f16 v14, v18, v14
	v_pk_mul_f16 v18, 0xbacd3722, v52 op_sel_hi:[1,0]
	v_pk_add_f16 v52, v86, v67
	v_pk_add_f16 v22, v22, v55
	v_bfi_b32 v13, 0xffff, v13, v54
	v_pk_add_f16 v14, v14, v16
	v_pk_mul_f16 v16, 0x39e92de8, v57 op_sel_hi:[1,0]
	v_bfi_b32 v17, 0xffff, v17, v52
	v_pk_add_f16 v52, v88, v58
	v_pk_mul_f16 v57, 0xba62bbf7, v69
	v_pk_add_f16 v14, v14, v15
	v_pk_mul_f16 v15, 0xbb29b964, v71
	v_add_f16_e32 v46, v78, v46
	v_bfi_b32 v12, 0xffff, v12, v52
	v_add_f16_e32 v45, v92, v45
	v_pk_add_f16 v14, v14, v17
	v_pk_fma_f16 v15, 0x372239e9, v79, v15
	v_pk_mul_f16 v17, 0x3722b8d2, v51 op_sel_hi:[1,0]
	v_pk_fma_f16 v51, 0xb8d22de8, v82, v57
	v_bfi_b32 v11, 0xffff, v11, v22
	v_pk_add_f16 v13, v13, v14
	v_pk_add_f16 v14, v81, v15
	v_pk_mul_f16 v15, 0x31e1ba62, v73
	v_add_f16_e32 v22, v46, v45
	v_add_f16_e32 v45, v93, v59
	v_pk_add_f16 v12, v12, v13
	v_pk_add_f16 v13, v14, v51
	v_pk_fma_f16 v14, 0xbbddb8d2, v84, v15
	v_pk_mul_f16 v15, 0x3bb2b1e1, v24
	v_pk_add_f16 v46, v91, v70
	v_pack_b32_f16 v76, v76, v76
	v_pk_mul_f16 v50, 0xb8d2b461, v50 op_sel_hi:[1,0]
	v_pk_add_f16 v13, v13, v14
	v_pk_fma_f16 v14, 0xb461bbdd, v85, v15
	v_pk_mul_f16 v15, 0x39643836, v74
	v_add_f16_e32 v22, v22, v45
	v_add_f16_e32 v20, v20, v65
	v_pk_add_f16 v11, v11, v12
	v_pk_add_f16 v13, v13, v14
	v_pk_fma_f16 v14, 0x39e9bacd, v72, v15
	v_pk_mul_f16 v15, 0xb5c83bb2, v75
	v_bfi_b32 v10, 0xffff, v10, v46
	v_pack_b32_f16 v89, v63, v63
	v_pk_mul_f16 v60, 0x2de8b8d2, v63 op_sel_hi:[1,0]
	v_pk_add_f16 v12, v13, v14
	v_pk_fma_f16 v13, 0x3b76b461, v23, v15
	v_add_f16_e32 v15, v22, v20
	v_add_f16_e32 v20, v94, v66
	v_pk_add_f16 v14, v10, v11
	v_pk_add_f16 v10, v50, v43
	;; [unrolled: 1-line block ×3, first 2 shown]
	v_pk_mul_f16 v12, 0xbbf73b29, v76
	v_add_f16_e32 v13, v15, v20
	v_add_f16_e32 v15, v95, v56
	v_pk_add_f16 v10, v81, v10
	v_pk_add_f16 v19, v19, v44
	v_pk_fma_f16 v12, 0x2de83722, v89, v12
	v_pk_add_f16 v40, v49, v40
	v_add_f16_e32 v13, v15, v13
	v_add_f16_e32 v15, v60, v62
	v_pk_add_f16 v10, v10, v19
	v_pk_add_f16 v19, v48, v47
	;; [unrolled: 1-line block ×3, first 2 shown]
	v_pk_mul_f16 v12, 0xb1e1b836, v71
	v_add_f16_e32 v13, v15, v13
	v_pk_add_f16 v15, v18, v42
	v_pk_add_f16 v10, v10, v19
	v_pk_mul_f16 v19, 0x35c83b29, v69
	v_pk_fma_f16 v18, 0xbbddbacd, v79, v12 neg_lo:[0,0,1] neg_hi:[0,0,1]
	v_pk_fma_f16 v12, 0xbbddbacd, v79, v12
	v_pk_mul_f16 v42, 0xb836bbf7, v73
	v_pk_add_f16 v10, v10, v15
	v_pk_mul_f16 v24, 0x39643a62, v24
	v_pk_add_f16 v15, v81, v18
	v_pk_fma_f16 v18, 0x3b763722, v82, v19 neg_lo:[0,0,1] neg_hi:[0,0,1]
	v_pk_add_f16 v12, v81, v12
	v_pk_fma_f16 v19, 0x3b763722, v82, v19
	v_pk_add_f16 v10, v10, v40
	v_pk_mul_f16 v40, 0xba62b5c8, v74
	v_pk_add_f16 v15, v15, v18
	v_pk_fma_f16 v18, 0xbacd2de8, v84, v42 neg_lo:[0,0,1] neg_hi:[0,0,1]
	v_pk_add_f16 v12, v12, v19
	v_pk_fma_f16 v19, 0xbacd2de8, v84, v42
	v_pk_add_f16 v16, v16, v39
	v_pk_mul_f16 v25, 0xbbdd3b76, v63 op_sel_hi:[1,0]
	v_pk_add_f16 v15, v15, v18
	v_pk_fma_f16 v18, 0x39e9b8d2, v85, v24 neg_lo:[0,0,1] neg_hi:[0,0,1]
	v_pk_add_f16 v12, v12, v19
	v_pk_fma_f16 v19, 0x39e9b8d2, v85, v24
	v_pk_mul_f16 v24, 0x3b29b1e1, v75
	v_pk_add_f16 v10, v16, v10
	v_pk_add_f16 v15, v15, v18
	v_pk_fma_f16 v18, 0xb8d23b76, v72, v40 neg_lo:[0,0,1] neg_hi:[0,0,1]
	v_pk_add_f16 v12, v12, v19
	v_pk_fma_f16 v19, 0xb8d23b76, v72, v40
	v_pk_fma_f16 v16, 0x3722bbdd, v23, v24 neg_lo:[0,0,1] neg_hi:[0,0,1]
	v_pk_mul_f16 v20, 0xb83635c8, v21
	v_pk_add_f16 v15, v15, v18
	v_pk_mul_f16 v18, 0xbbb23964, v76
	v_pk_add_f16 v12, v12, v19
	v_pk_fma_f16 v19, 0x3722bbdd, v23, v24
	v_pk_mul_f16 v21, 0x3bf7bbb2, v21
	v_pk_add_f16 v15, v16, v15
	v_pk_fma_f16 v16, 0xb46139e9, v89, v18 neg_lo:[0,0,1] neg_hi:[0,0,1]
	v_pk_add_f16 v23, v25, v38
	v_pk_add_f16 v12, v19, v12
	v_pk_fma_f16 v18, 0xb46139e9, v89, v18
	v_pk_fma_f16 v19, 0x2de8b461, v90, v21 neg_lo:[0,0,1] neg_hi:[0,0,1]
	v_pk_add_f16 v16, v16, v15
	v_pk_fma_f16 v20, 0xbacd3b76, v90, v20
	v_pk_add_f16 v10, v23, v10
	v_pk_add_f16 v17, v17, v41
	v_add_f16_e32 v22, v80, v53
	v_pk_add_f16 v12, v18, v12
	v_pk_fma_f16 v18, 0x2de8b461, v90, v21
	v_pk_add_f16 v16, v19, v16
	v_pk_add_f16 v15, v20, v11
	;; [unrolled: 1-line block ×3, first 2 shown]
	v_lshl_add_u32 v17, v0, 5, v1
	v_add_f16_e32 v19, v22, v13
	v_pk_add_f16 v11, v18, v12
	v_alignbit_b32 v12, v16, v16, 16
	v_alignbit_b32 v13, v9, v9, 16
	ds_store_b64 v17, v[14:15]
	ds_store_b16 v17, v19 offset:8
	ds_store_b128 v17, v[10:13] offset:10
	ds_store_b64 v17, v[6:7] offset:26
.LBB0_15:
	s_wait_alu 0xfffe
	s_or_b32 exec_lo, exec_lo, s1
	v_and_b32_e32 v20, 0xff, v0
	v_add_nc_u32_e32 v10, 0xaa, v0
	v_add_nc_u32_e32 v21, 0x154, v0
	global_wb scope:SCOPE_SE
	s_wait_dscnt 0x0
	s_barrier_signal -1
	v_mul_lo_u16 v11, 0xf1, v20
	s_barrier_wait -1
	v_and_b32_e32 v12, 0xffff, v21
	global_inv scope:SCOPE_SE
	v_add_nc_u32_e32 v42, 0x1fe, v0
	v_lshrrev_b16 v22, 12, v11
	v_and_b32_e32 v11, 0xffff, v10
	v_mul_u32_u24_e32 v24, 0xf0f1, v12
	v_mul_lo_u16 v20, 0x79, v20
	v_and_b32_e32 v51, 0xffff, v42
	v_mul_lo_u16 v13, v22, 17
	v_mul_u32_u24_e32 v23, 0xf0f1, v11
	v_lshrrev_b32_e32 v38, 20, v24
	v_lshrrev_b16 v20, 13, v20
	v_mul_u32_u24_e32 v51, 0xf0f1, v51
	v_sub_nc_u16 v11, v0, v13
	v_lshrrev_b32_e32 v25, 20, v23
	v_mul_lo_u16 v12, v38, 17
	v_mul_lo_u16 v56, 0x44, v20
	v_lshrrev_b32_e32 v57, 22, v23
	v_and_b32_e32 v39, 0xff, v11
	v_mul_lo_u16 v11, v25, 17
	v_sub_nc_u16 v12, v21, v12
	v_lshrrev_b32_e32 v58, 22, v24
	v_lshrrev_b32_e32 v51, 22, v51
	v_mul_u32_u24_e32 v13, 3, v39
	v_sub_nc_u16 v11, v10, v11
	v_and_b32_e32 v41, 0xffff, v12
	v_mul_u32_u24_e32 v23, 0x88, v25
	v_sub_nc_u16 v24, v0, v56
	v_lshlrev_b32_e32 v13, 2, v13
	v_and_b32_e32 v40, 0xffff, v11
	v_mul_u32_u24_e32 v15, 3, v41
	v_mul_lo_u16 v25, 0x44, v57
	v_mul_lo_u16 v56, 0x44, v58
	global_load_b96 v[11:13], v13, s[4:5]
	v_mul_u32_u24_e32 v14, 3, v40
	v_lshlrev_b32_e32 v17, 2, v15
	v_mul_lo_u16 v59, 0x44, v51
	v_and_b32_e32 v60, 0xff, v24
	v_sub_nc_u16 v24, v10, v25
	v_lshlrev_b32_e32 v14, 2, v14
	v_sub_nc_u16 v21, v21, v56
	v_mul_u32_u24_e32 v38, 0x88, v38
	v_sub_nc_u16 v25, v42, v59
	s_clause 0x1
	global_load_b96 v[14:16], v14, s[4:5]
	global_load_b96 v[17:19], v17, s[4:5]
	ds_load_u16 v43, v1
	ds_load_u16 v44, v1 offset:340
	ds_load_u16 v45, v1 offset:1360
	;; [unrolled: 1-line block ×11, first 2 shown]
	v_and_b32_e32 v56, 0xffff, v24
	v_and_b32_e32 v59, 0xffff, v21
	v_lshlrev_b32_e32 v21, 1, v40
	v_lshlrev_b32_e32 v24, 1, v41
	v_and_b32_e32 v22, 0xffff, v22
	v_lshlrev_b32_e32 v39, 1, v39
	v_lshlrev_b32_e32 v42, 3, v60
	v_add3_u32 v21, 0, v23, v21
	v_add3_u32 v23, 0, v38, v24
	v_mul_u32_u24_e32 v22, 0x88, v22
	v_and_b32_e32 v61, 0xffff, v25
	v_lshlrev_b32_e32 v25, 3, v56
	global_wb scope:SCOPE_SE
	s_wait_loadcnt_dscnt 0x0
	s_barrier_signal -1
	v_add3_u32 v22, 0, v22, v39
	v_lshlrev_b32_e32 v39, 3, v59
	s_barrier_wait -1
	global_inv scope:SCOPE_SE
	v_cmp_gt_u32_e64 s0, 34, v0
	v_lshrrev_b32_e32 v24, 16, v11
	v_lshrrev_b32_e32 v38, 16, v12
	;; [unrolled: 1-line block ×3, first 2 shown]
	s_delay_alu instid0(VALU_DEP_3) | instskip(SKIP_1) | instid1(VALU_DEP_4)
	v_mul_f16_e32 v41, v49, v24
	v_mul_f16_e32 v24, v36, v24
	;; [unrolled: 1-line block ×6, first 2 shown]
	v_lshrrev_b32_e32 v64, 16, v14
	v_lshrrev_b32_e32 v65, 16, v15
	;; [unrolled: 1-line block ×6, first 2 shown]
	v_fma_f16 v36, v36, v11, -v41
	v_fmac_f16_e32 v24, v49, v11
	v_fma_f16 v11, v35, v12, -v62
	v_fmac_f16_e32 v38, v47, v12
	;; [unrolled: 2-line block ×3, first 2 shown]
	v_mul_f16_e32 v13, v45, v64
	v_mul_f16_e32 v35, v31, v64
	;; [unrolled: 1-line block ×12, first 2 shown]
	v_fma_f16 v13, v31, v14, -v13
	v_fmac_f16_e32 v35, v45, v14
	v_fma_f16 v14, v29, v15, -v37
	v_fmac_f16_e32 v41, v46, v15
	;; [unrolled: 2-line block ×5, first 2 shown]
	v_fma_f16 v18, v32, v19, -v65
	v_sub_f16_e32 v11, v28, v11
	v_sub_f16_e32 v29, v43, v38
	;; [unrolled: 1-line block ×4, first 2 shown]
	v_fmac_f16_e32 v66, v53, v19
	v_sub_f16_e32 v14, v26, v14
	v_sub_f16_e32 v32, v44, v41
	;; [unrolled: 1-line block ×6, first 2 shown]
	v_fma_f16 v19, v28, 2.0, -v11
	v_fma_f16 v28, v43, 2.0, -v29
	;; [unrolled: 1-line block ×4, first 2 shown]
	v_sub_f16_e32 v34, v50, v64
	v_sub_f16_e32 v36, v62, v66
	v_fma_f16 v26, v26, 2.0, -v14
	v_fma_f16 v37, v44, 2.0, -v32
	;; [unrolled: 1-line block ×6, first 2 shown]
	v_sub_f16_e32 v31, v19, v31
	v_sub_f16_e32 v24, v28, v24
	v_fma_f16 v38, v50, 2.0, -v34
	v_fma_f16 v40, v62, 2.0, -v36
	v_sub_f16_e32 v30, v11, v30
	v_add_f16_e32 v12, v29, v12
	v_sub_f16_e32 v36, v17, v36
	v_sub_f16_e32 v13, v26, v13
	;; [unrolled: 1-line block ×5, first 2 shown]
	v_add_f16_e32 v15, v32, v15
	v_add_f16_e32 v18, v34, v18
	v_fma_f16 v19, v19, 2.0, -v31
	v_fma_f16 v28, v28, 2.0, -v24
	v_sub_f16_e32 v40, v38, v40
	v_fma_f16 v11, v11, 2.0, -v30
	v_fma_f16 v29, v29, 2.0, -v12
	;; [unrolled: 1-line block ×10, first 2 shown]
	ds_store_b16 v22, v19
	ds_store_b16 v22, v11 offset:34
	ds_store_b16 v22, v31 offset:68
	ds_store_b16 v22, v30 offset:102
	ds_store_b16 v21, v26
	ds_store_b16 v21, v14 offset:34
	ds_store_b16 v21, v13 offset:68
	ds_store_b16 v21, v33 offset:102
	;; [unrolled: 4-line block ×3, first 2 shown]
	global_wb scope:SCOPE_SE
	s_wait_dscnt 0x0
	s_barrier_signal -1
	s_barrier_wait -1
	global_inv scope:SCOPE_SE
	ds_load_u16 v17, v1
	ds_load_u16 v27, v1 offset:340
	ds_load_u16 v30, v1 offset:680
	;; [unrolled: 1-line block ×11, first 2 shown]
	global_wb scope:SCOPE_SE
	s_wait_dscnt 0x0
	s_barrier_signal -1
	s_barrier_wait -1
	global_inv scope:SCOPE_SE
	ds_store_b16 v22, v28
	ds_store_b16 v22, v29 offset:34
	ds_store_b16 v22, v24 offset:68
	ds_store_b16 v22, v12 offset:102
	ds_store_b16 v21, v37
	ds_store_b16 v21, v32 offset:34
	ds_store_b16 v21, v35 offset:68
	ds_store_b16 v21, v15 offset:102
	;; [unrolled: 4-line block ×3, first 2 shown]
	global_wb scope:SCOPE_SE
	s_wait_dscnt 0x0
	s_barrier_signal -1
	s_barrier_wait -1
	global_inv scope:SCOPE_SE
	global_load_b64 v[15:16], v42, s[4:5] offset:204
	v_lshlrev_b32_e32 v12, 3, v61
	s_clause 0x2
	global_load_b64 v[21:22], v25, s[4:5] offset:204
	global_load_b64 v[23:24], v39, s[4:5] offset:204
	;; [unrolled: 1-line block ×3, first 2 shown]
	v_and_b32_e32 v12, 0xffff, v20
	v_mul_u32_u24_e32 v14, 0x198, v57
	v_mul_u32_u24_e32 v18, 0x198, v58
	;; [unrolled: 1-line block ×3, first 2 shown]
	v_lshlrev_b32_e32 v19, 1, v60
	v_mul_u32_u24_e32 v12, 0x198, v12
	v_lshlrev_b32_e32 v20, 1, v56
	v_lshlrev_b32_e32 v29, 1, v59
	v_lshlrev_b32_e32 v32, 1, v61
	s_delay_alu instid0(VALU_DEP_4) | instskip(NEXT) | instid1(VALU_DEP_4)
	v_add3_u32 v31, 0, v12, v19
	v_add3_u32 v20, 0, v14, v20
	s_delay_alu instid0(VALU_DEP_4) | instskip(NEXT) | instid1(VALU_DEP_4)
	v_add3_u32 v19, 0, v18, v29
	v_add3_u32 v18, 0, v28, v32
	ds_load_u16 v28, v1 offset:2720
	ds_load_u16 v34, v1
	ds_load_u16 v33, v1 offset:340
	ds_load_u16 v32, v1 offset:680
	;; [unrolled: 1-line block ×10, first 2 shown]
	global_wb scope:SCOPE_SE
	s_wait_loadcnt_dscnt 0x0
	s_barrier_signal -1
	s_barrier_wait -1
	global_inv scope:SCOPE_SE
	v_lshrrev_b32_e32 v12, 16, v15
	v_lshrrev_b32_e32 v35, 16, v16
	;; [unrolled: 1-line block ×8, first 2 shown]
	v_mul_f16_e32 v59, v29, v12
	v_mul_f16_e32 v60, v28, v35
	v_mul_f16_e32 v61, v38, v36
	v_mul_f16_e32 v44, v11, v36
	v_mul_f16_e32 v62, v40, v37
	v_mul_f16_e32 v43, v52, v37
	v_mul_f16_e32 v63, v39, v48
	v_mul_f16_e32 v64, v55, v49
	v_mul_f16_e32 v36, v41, v48
	v_mul_f16_e32 v65, v51, v57
	v_mul_f16_e32 v37, v50, v57
	v_mul_f16_e32 v57, v56, v58
	v_mul_f16_e32 v45, v46, v12
	v_mul_f16_e32 v42, v47, v35
	v_mul_f16_e32 v12, v53, v49
	v_fma_f16 v48, v46, v15, -v59
	v_fma_f16 v49, v47, v16, -v60
	;; [unrolled: 1-line block ×3, first 2 shown]
	v_fmac_f16_e32 v44, v38, v21
	v_fma_f16 v47, v52, v22, -v62
	v_fmac_f16_e32 v43, v40, v22
	v_fma_f16 v38, v41, v23, -v63
	v_fma_f16 v40, v53, v24, -v64
	v_mul_f16_e32 v35, v54, v58
	v_fmac_f16_e32 v36, v39, v23
	v_fma_f16 v39, v50, v25, -v65
	v_fma_f16 v41, v54, v26, -v57
	v_fmac_f16_e32 v45, v29, v15
	v_fmac_f16_e32 v42, v28, v16
	v_add_f16_e32 v15, v48, v49
	v_fmac_f16_e32 v12, v55, v24
	v_fmac_f16_e32 v37, v51, v25
	v_add_f16_e32 v22, v46, v47
	v_add_f16_e32 v25, v38, v40
	v_fmac_f16_e32 v35, v56, v26
	v_add_f16_e32 v11, v17, v48
	v_add_f16_e32 v29, v39, v41
	v_sub_f16_e32 v16, v45, v42
	v_add_f16_e32 v21, v27, v46
	v_add_f16_e32 v24, v30, v38
	v_fmac_f16_e32 v17, -0.5, v15
	v_sub_f16_e32 v23, v44, v43
	v_sub_f16_e32 v26, v36, v12
	v_add_f16_e32 v28, v13, v39
	v_fmac_f16_e32 v27, -0.5, v22
	v_fmac_f16_e32 v30, -0.5, v25
	v_sub_f16_e32 v50, v37, v35
	v_add_f16_e32 v51, v11, v49
	v_fmac_f16_e32 v13, -0.5, v29
	v_add_f16_e32 v15, v21, v47
	v_add_f16_e32 v21, v24, v40
	v_fmamk_f16 v24, v16, 0x3aee, v17
	v_fmac_f16_e32 v17, 0xbaee, v16
	v_add_f16_e32 v22, v28, v41
	v_fmamk_f16 v16, v23, 0x3aee, v27
	v_fmac_f16_e32 v27, 0xbaee, v23
	v_fmamk_f16 v23, v26, 0x3aee, v30
	v_fmac_f16_e32 v30, 0xbaee, v26
	;; [unrolled: 2-line block ×3, first 2 shown]
	ds_store_b16 v31, v51
	ds_store_b16 v31, v24 offset:136
	ds_store_b16 v31, v17 offset:272
	ds_store_b16 v20, v15
	ds_store_b16 v20, v16 offset:136
	ds_store_b16 v20, v27 offset:272
	;; [unrolled: 3-line block ×4, first 2 shown]
	global_wb scope:SCOPE_SE
	s_wait_dscnt 0x0
	s_barrier_signal -1
	s_barrier_wait -1
	global_inv scope:SCOPE_SE
	ds_load_u16 v21, v1
	ds_load_u16 v22, v1 offset:408
	ds_load_u16 v24, v1 offset:816
	;; [unrolled: 1-line block ×9, first 2 shown]
                                        ; implicit-def: $vgpr15
                                        ; implicit-def: $vgpr17
                                        ; implicit-def: $vgpr16
	s_and_saveexec_b32 s1, s0
	s_cbranch_execz .LBB0_17
; %bb.16:
	ds_load_u16 v4, v1 offset:1564
	ds_load_u16 v5, v1 offset:2380
	;; [unrolled: 1-line block ×7, first 2 shown]
	s_wait_dscnt 0x6
	ds_load_u16_d16_hi v4, v1 offset:1972
	s_wait_dscnt 0x6
	ds_load_u16_d16_hi v5, v1 offset:2788
	ds_load_u16 v17, v1 offset:3604
.LBB0_17:
	s_wait_alu 0xfffe
	s_or_b32 exec_lo, exec_lo, s1
	v_sub_f16_e32 v48, v48, v49
	v_add_f16_e32 v49, v44, v43
	v_add_f16_e32 v44, v33, v44
	v_sub_f16_e32 v46, v46, v47
	v_add_f16_e32 v50, v45, v42
	v_add_f16_e32 v45, v34, v45
	v_fmac_f16_e32 v33, -0.5, v49
	v_add_f16_e32 v43, v44, v43
	v_add_f16_e32 v44, v36, v12
	v_fmac_f16_e32 v34, -0.5, v50
	v_add_f16_e32 v36, v32, v36
	v_fmamk_f16 v47, v46, 0xbaee, v33
	v_fmac_f16_e32 v33, 0x3aee, v46
	v_add_f16_e32 v46, v37, v35
	v_fmac_f16_e32 v32, -0.5, v44
	v_sub_f16_e32 v38, v38, v40
	v_add_f16_e32 v37, v14, v37
	v_add_f16_e32 v42, v45, v42
	v_fmac_f16_e32 v14, -0.5, v46
	v_sub_f16_e32 v39, v39, v41
	v_fmamk_f16 v45, v48, 0xbaee, v34
	v_fmac_f16_e32 v34, 0x3aee, v48
	v_add_f16_e32 v36, v36, v12
	v_fmamk_f16 v40, v38, 0xbaee, v32
	v_fmac_f16_e32 v32, 0x3aee, v38
	v_add_f16_e32 v35, v37, v35
	v_fmamk_f16 v12, v39, 0xbaee, v14
	v_fmac_f16_e32 v14, 0x3aee, v39
	global_wb scope:SCOPE_SE
	s_wait_dscnt 0x0
	s_barrier_signal -1
	s_barrier_wait -1
	global_inv scope:SCOPE_SE
	ds_store_b16 v31, v42
	ds_store_b16 v31, v45 offset:136
	ds_store_b16 v31, v34 offset:272
	ds_store_b16 v20, v43
	ds_store_b16 v20, v47 offset:136
	ds_store_b16 v20, v33 offset:272
	;; [unrolled: 3-line block ×4, first 2 shown]
	global_wb scope:SCOPE_SE
	s_wait_dscnt 0x0
	s_barrier_signal -1
	s_barrier_wait -1
	global_inv scope:SCOPE_SE
	ds_load_u16 v31, v1
	ds_load_u16 v32, v1 offset:408
	ds_load_u16 v37, v1 offset:816
	;; [unrolled: 1-line block ×9, first 2 shown]
                                        ; implicit-def: $vgpr18
                                        ; implicit-def: $vgpr20
                                        ; implicit-def: $vgpr19
	s_and_saveexec_b32 s1, s0
	s_cbranch_execz .LBB0_19
; %bb.18:
	ds_load_u16 v6, v1 offset:1564
	ds_load_u16 v7, v1 offset:2380
	;; [unrolled: 1-line block ×7, first 2 shown]
	s_wait_dscnt 0x6
	ds_load_u16_d16_hi v6, v1 offset:1972
	s_wait_dscnt 0x6
	ds_load_u16_d16_hi v7, v1 offset:2788
	ds_load_u16 v20, v1 offset:3604
.LBB0_19:
	s_wait_alu 0xfffe
	s_or_b32 exec_lo, exec_lo, s1
	s_and_saveexec_b32 s1, vcc_lo
	s_cbranch_execz .LBB0_22
; %bb.20:
	v_mul_u32_u24_e32 v1, 9, v0
	v_add_co_u32 v2, vcc_lo, s8, v2
	s_wait_alu 0xfffd
	v_add_co_ci_u32_e32 v3, vcc_lo, s9, v3, vcc_lo
	s_delay_alu instid0(VALU_DEP_3)
	v_lshlrev_b32_e32 v1, 2, v1
	s_clause 0x2
	global_load_b128 v[41:44], v1, s[4:5] offset:748
	global_load_b128 v[45:48], v1, s[4:5] offset:764
	global_load_b32 v51, v1, s[4:5] offset:780
	v_mov_b32_e32 v1, 0
	s_delay_alu instid0(VALU_DEP_1) | instskip(NEXT) | instid1(VALU_DEP_1)
	v_lshlrev_b64_e32 v[49:50], 2, v[0:1]
	v_add_co_u32 v2, vcc_lo, v2, v49
	s_wait_alu 0xfffd
	s_delay_alu instid0(VALU_DEP_2)
	v_add_co_ci_u32_e32 v3, vcc_lo, v3, v50, vcc_lo
	s_wait_loadcnt 0x2
	v_lshrrev_b32_e32 v50, 16, v42
	v_lshrrev_b32_e32 v52, 16, v43
	;; [unrolled: 1-line block ×3, first 2 shown]
	s_wait_loadcnt 0x1
	v_lshrrev_b32_e32 v54, 16, v45
	v_lshrrev_b32_e32 v55, 16, v46
	;; [unrolled: 1-line block ×4, first 2 shown]
	s_wait_loadcnt 0x0
	v_lshrrev_b32_e32 v58, 16, v51
	v_lshrrev_b32_e32 v49, 16, v41
	v_mul_f16_e32 v59, v24, v50
	v_mul_f16_e32 v60, v28, v53
	;; [unrolled: 1-line block ×4, first 2 shown]
	s_wait_dscnt 0x6
	v_mul_f16_e32 v63, v33, v52
	s_wait_dscnt 0x4
	v_mul_f16_e32 v64, v34, v54
	;; [unrolled: 2-line block ×3, first 2 shown]
	v_mul_f16_e32 v66, v35, v57
	v_mul_f16_e32 v52, v23, v52
	;; [unrolled: 1-line block ×11, first 2 shown]
	v_fmac_f16_e32 v59, v37, v42
	v_fmac_f16_e32 v60, v38, v44
	;; [unrolled: 1-line block ×4, first 2 shown]
	v_fma_f16 v23, v23, v43, -v63
	v_fma_f16 v25, v25, v45, -v64
	;; [unrolled: 1-line block ×4, first 2 shown]
	v_fmac_f16_e32 v52, v33, v43
	v_fmac_f16_e32 v58, v36, v51
	;; [unrolled: 1-line block ×4, first 2 shown]
	v_fma_f16 v28, v28, v44, -v53
	v_fma_f16 v29, v29, v46, -v55
	;; [unrolled: 1-line block ×5, first 2 shown]
	v_fmac_f16_e32 v49, v32, v41
	v_sub_f16_e32 v32, v59, v60
	v_sub_f16_e32 v33, v61, v62
	v_add_f16_e32 v36, v60, v62
	v_sub_f16_e32 v37, v23, v25
	v_sub_f16_e32 v38, v27, v26
	v_add_f16_e32 v39, v25, v26
	v_sub_f16_e32 v42, v52, v54
	v_sub_f16_e32 v43, v58, v57
	v_add_f16_e32 v46, v54, v57
	v_sub_f16_e32 v47, v60, v59
	v_sub_f16_e32 v48, v62, v61
	v_add_f16_e32 v55, v23, v27
	v_add_f16_e32 v64, v52, v58
	v_sub_f16_e32 v35, v24, v30
	v_sub_f16_e32 v40, v52, v58
	;; [unrolled: 1-line block ×9, first 2 shown]
	v_add_f16_e32 v65, v31, v59
	v_add_f16_e32 v52, v52, v49
	v_sub_f16_e32 v66, v24, v28
	v_sub_f16_e32 v70, v28, v24
	v_add_f16_e32 v72, v24, v30
	v_add_f16_e32 v24, v21, v24
	;; [unrolled: 1-line block ×4, first 2 shown]
	v_fma_f16 v33, -0.5, v36, v31
	v_add_f16_e32 v36, v37, v38
	v_fma_f16 v37, -0.5, v39, v22
	v_add_f16_e32 v38, v42, v43
	;; [unrolled: 2-line block ×3, first 2 shown]
	v_fma_f16 v22, -0.5, v55, v22
	v_fma_f16 v47, -0.5, v64, v49
	v_sub_f16_e32 v34, v28, v29
	v_add_f16_e32 v50, v59, v61
	v_add_f16_e32 v68, v28, v29
	;; [unrolled: 1-line block ×8, first 2 shown]
	v_fmamk_f16 v28, v40, 0xbb9c, v37
	v_fmamk_f16 v53, v45, 0x3b9c, v39
	;; [unrolled: 1-line block ×4, first 2 shown]
	v_fmac_f16_e32 v22, 0xbb9c, v41
	v_fmac_f16_e32 v39, 0xbb9c, v45
	;; [unrolled: 1-line block ×4, first 2 shown]
	v_sub_f16_e32 v59, v59, v61
	v_fma_f16 v31, -0.5, v50, v31
	v_fma_f16 v51, -0.5, v68, v21
	v_fmamk_f16 v25, v35, 0x3b9c, v33
	v_fmac_f16_e32 v33, 0xbb9c, v35
	v_add_f16_e32 v48, v48, v62
	v_add_f16_e32 v49, v57, v49
	;; [unrolled: 1-line block ×4, first 2 shown]
	v_fmac_f16_e32 v53, 0x38b4, v44
	v_fmac_f16_e32 v56, 0x38b4, v45
	;; [unrolled: 1-line block ×5, first 2 shown]
	v_sub_f16_e32 v69, v60, v62
	v_fma_f16 v21, -0.5, v72, v21
	v_fmac_f16_e32 v47, 0xb8b4, v45
	v_fmac_f16_e32 v55, 0xb8b4, v40
	;; [unrolled: 1-line block ×3, first 2 shown]
	v_sub_f16_e32 v67, v30, v29
	v_sub_f16_e32 v71, v29, v30
	v_fmamk_f16 v54, v34, 0xbb9c, v31
	v_fmac_f16_e32 v31, 0x3b9c, v34
	v_fmamk_f16 v57, v59, 0xbb9c, v51
	v_fmac_f16_e32 v51, 0x3b9c, v59
	v_fmac_f16_e32 v25, 0x38b4, v34
	;; [unrolled: 1-line block ×3, first 2 shown]
	v_add_f16_e32 v26, v61, v48
	v_add_f16_e32 v29, v58, v49
	;; [unrolled: 1-line block ×4, first 2 shown]
	v_fmac_f16_e32 v53, 0x34f2, v38
	v_fmac_f16_e32 v56, 0x34f2, v46
	;; [unrolled: 1-line block ×5, first 2 shown]
	v_fmamk_f16 v60, v69, 0x3b9c, v21
	v_fmac_f16_e32 v21, 0xbb9c, v69
	v_fmac_f16_e32 v47, 0x34f2, v46
	;; [unrolled: 1-line block ×4, first 2 shown]
	v_add_f16_e32 v50, v66, v67
	v_fmac_f16_e32 v54, 0x38b4, v35
	v_fmac_f16_e32 v31, 0xb8b4, v35
	;; [unrolled: 1-line block ×5, first 2 shown]
	v_sub_f16_e32 v27, v26, v29
	v_sub_f16_e32 v30, v24, v23
	v_add_f16_e32 v26, v26, v29
	v_add_f16_e32 v23, v24, v23
	v_mul_f16_e32 v24, 0x3a79, v53
	v_mul_f16_e32 v29, 0x34f2, v56
	;; [unrolled: 1-line block ×5, first 2 shown]
	v_add_f16_e32 v52, v70, v71
	v_fmac_f16_e32 v21, 0x38b4, v59
	v_mul_f16_e32 v38, 0x3b9c, v47
	v_fmac_f16_e32 v60, 0xb8b4, v59
	v_mul_f16_e32 v36, 0x34f2, v55
	;; [unrolled: 2-line block ×3, first 2 shown]
	v_fmac_f16_e32 v54, 0x34f2, v42
	v_fmac_f16_e32 v31, 0x34f2, v42
	;; [unrolled: 1-line block ×3, first 2 shown]
	v_pack_b32_f16 v23, v23, v26
	v_pack_b32_f16 v26, v30, v27
	v_fma_f16 v24, v28, 0xb8b4, -v24
	v_fma_f16 v27, v55, 0xbb9c, -v29
	v_fmac_f16_e32 v32, 0x34f2, v47
	v_fmac_f16_e32 v34, 0x3a79, v39
	;; [unrolled: 1-line block ×6, first 2 shown]
	v_fma_f16 v29, v56, 0x3b9c, -v36
	v_fmac_f16_e32 v57, 0x34f2, v50
	v_fma_f16 v28, v53, 0x38b4, -v35
	v_sub_f16_e32 v22, v25, v24
	v_sub_f16_e32 v30, v54, v27
	v_sub_f16_e32 v35, v31, v32
	v_add_f16_e32 v24, v25, v24
	v_add_f16_e32 v25, v54, v27
	;; [unrolled: 1-line block ×5, first 2 shown]
	v_sub_f16_e32 v41, v21, v38
	v_add_f16_e32 v21, v21, v38
	v_sub_f16_e32 v39, v60, v29
	v_add_f16_e32 v29, v60, v29
	;; [unrolled: 2-line block ×3, first 2 shown]
	v_sub_f16_e32 v36, v33, v34
	v_sub_f16_e32 v33, v51, v40
	v_pack_b32_f16 v31, v32, v31
	v_pack_b32_f16 v21, v21, v27
	;; [unrolled: 1-line block ×8, first 2 shown]
	s_clause 0x9
	global_store_b32 v[2:3], v23, off
	global_store_b32 v[2:3], v31, off offset:816
	global_store_b32 v[2:3], v21, off offset:1632
	;; [unrolled: 1-line block ×9, first 2 shown]
	s_and_b32 exec_lo, exec_lo, s0
	s_cbranch_execz .LBB0_22
; %bb.21:
	v_subrev_nc_u32_e32 v0, 34, v0
	v_lshrrev_b32_e32 v29, 16, v5
	v_lshrrev_b32_e32 v30, 16, v7
	s_delay_alu instid0(VALU_DEP_3) | instskip(SKIP_1) | instid1(VALU_DEP_2)
	v_cndmask_b32_e64 v0, v0, v10, s0
	v_lshrrev_b32_e32 v10, 16, v6
	v_mul_i32_i24_e32 v0, 9, v0
	s_delay_alu instid0(VALU_DEP_1) | instskip(NEXT) | instid1(VALU_DEP_1)
	v_lshlrev_b64_e32 v[0:1], 2, v[0:1]
	v_add_co_u32 v0, vcc_lo, s4, v0
	s_wait_alu 0xfffd
	s_delay_alu instid0(VALU_DEP_2)
	v_add_co_ci_u32_e32 v1, vcc_lo, s5, v1, vcc_lo
	s_clause 0x2
	global_load_b128 v[21:24], v[0:1], off offset:748
	global_load_b128 v[25:28], v[0:1], off offset:764
	global_load_b32 v0, v[0:1], off offset:780
	v_lshrrev_b32_e32 v1, 16, v4
	s_wait_loadcnt 0x2
	v_lshrrev_b32_e32 v31, 16, v21
	v_lshrrev_b32_e32 v32, 16, v22
	;; [unrolled: 1-line block ×4, first 2 shown]
	s_wait_loadcnt 0x1
	v_lshrrev_b32_e32 v35, 16, v25
	v_lshrrev_b32_e32 v36, 16, v26
	;; [unrolled: 1-line block ×4, first 2 shown]
	s_wait_loadcnt 0x0
	v_lshrrev_b32_e32 v39, 16, v0
	v_mul_f16_e32 v40, v14, v31
	v_mul_f16_e32 v41, v9, v32
	;; [unrolled: 1-line block ×18, first 2 shown]
	v_fma_f16 v13, v13, v21, -v40
	v_fma_f16 v8, v8, v22, -v41
	v_fmac_f16_e32 v32, v9, v22
	v_fma_f16 v4, v4, v23, -v42
	v_fmac_f16_e32 v33, v6, v23
	;; [unrolled: 2-line block ×8, first 2 shown]
	v_fmac_f16_e32 v31, v14, v21
	v_add_f16_e32 v0, v11, v8
	v_add_f16_e32 v14, v1, v6
	v_sub_f16_e32 v15, v32, v38
	v_sub_f16_e32 v17, v8, v1
	;; [unrolled: 1-line block ×3, first 2 shown]
	v_add_f16_e32 v19, v8, v9
	v_add_f16_e32 v22, v12, v32
	;; [unrolled: 1-line block ×3, first 2 shown]
	v_sub_f16_e32 v25, v32, v34
	v_add_f16_e32 v27, v32, v38
	v_sub_f16_e32 v28, v34, v32
	v_add_f16_e32 v30, v13, v4
	v_add_f16_e32 v32, v5, v7
	;; [unrolled: 1-line block ×5, first 2 shown]
	v_sub_f16_e32 v20, v1, v8
	v_sub_f16_e32 v21, v6, v9
	;; [unrolled: 1-line block ×7, first 2 shown]
	v_add_f16_e32 v47, v31, v33
	v_sub_f16_e32 v4, v4, v10
	v_sub_f16_e32 v49, v5, v7
	v_add_f16_e32 v0, v0, v1
	v_fma_f16 v1, -0.5, v14, v11
	v_add_f16_e32 v14, v17, v18
	v_fmac_f16_e32 v11, -0.5, v19
	v_add_f16_e32 v18, v22, v34
	v_fma_f16 v19, -0.5, v23, v12
	v_fmac_f16_e32 v12, -0.5, v27
	v_add_f16_e32 v5, v30, v5
	v_fma_f16 v22, -0.5, v32, v13
	v_fma_f16 v27, -0.5, v48, v31
	v_sub_f16_e32 v41, v35, v37
	v_fmac_f16_e32 v13, -0.5, v44
	v_fmac_f16_e32 v31, -0.5, v52
	v_sub_f16_e32 v29, v36, v38
	v_sub_f16_e32 v43, v10, v7
	;; [unrolled: 1-line block ×7, first 2 shown]
	v_add_f16_e32 v17, v20, v21
	v_add_f16_e32 v20, v25, v26
	;; [unrolled: 1-line block ×4, first 2 shown]
	v_fmamk_f16 v7, v40, 0x3b9c, v22
	v_fmamk_f16 v35, v4, 0xbb9c, v27
	v_sub_f16_e32 v16, v34, v36
	v_add_f16_e32 v18, v18, v36
	v_fmamk_f16 v34, v41, 0xbb9c, v13
	v_fmamk_f16 v36, v49, 0x3b9c, v31
	v_fmac_f16_e32 v13, 0x3b9c, v41
	v_fmac_f16_e32 v31, 0xbb9c, v49
	v_sub_f16_e32 v8, v8, v9
	v_fmac_f16_e32 v22, 0xbb9c, v40
	v_fmac_f16_e32 v27, 0x3b9c, v4
	v_add_f16_e32 v21, v28, v29
	v_add_f16_e32 v23, v42, v43
	;; [unrolled: 1-line block ×5, first 2 shown]
	v_fmamk_f16 v33, v24, 0x3b9c, v12
	v_fmac_f16_e32 v12, 0xbb9c, v24
	v_add_f16_e32 v26, v26, v37
	v_fmac_f16_e32 v7, 0x38b4, v41
	v_fmac_f16_e32 v35, 0xb8b4, v49
	v_add_f16_e32 v25, v45, v46
	v_fmamk_f16 v30, v16, 0xbb9c, v11
	v_fmac_f16_e32 v11, 0x3b9c, v16
	v_fmac_f16_e32 v34, 0x38b4, v40
	v_fmac_f16_e32 v36, 0xb8b4, v4
	v_fmamk_f16 v6, v15, 0x3b9c, v1
	v_fmac_f16_e32 v1, 0xbb9c, v15
	v_fmac_f16_e32 v13, 0xb8b4, v40
	v_fmac_f16_e32 v31, 0x38b4, v4
	;; [unrolled: 4-line block ×3, first 2 shown]
	v_add_f16_e32 v0, v0, v9
	v_add_f16_e32 v9, v18, v38
	v_fmac_f16_e32 v33, 0xb8b4, v8
	v_fmac_f16_e32 v12, 0x38b4, v8
	v_add_f16_e32 v5, v5, v10
	v_add_f16_e32 v8, v26, v39
	v_fmac_f16_e32 v7, 0x34f2, v23
	v_fmac_f16_e32 v35, 0x34f2, v28
	;; [unrolled: 1-line block ×14, first 2 shown]
	v_add_f16_e32 v4, v0, v5
	v_add_f16_e32 v10, v9, v8
	v_sub_f16_e32 v0, v0, v5
	v_sub_f16_e32 v5, v9, v8
	v_mul_f16_e32 v8, 0x38b4, v35
	v_mul_f16_e32 v16, 0xb8b4, v7
	v_fmac_f16_e32 v30, 0x34f2, v17
	v_fmac_f16_e32 v11, 0x34f2, v17
	v_mul_f16_e32 v9, 0x3b9c, v36
	v_mul_f16_e32 v17, 0xbb9c, v34
	v_fmac_f16_e32 v6, 0x34f2, v14
	v_fmac_f16_e32 v1, 0x34f2, v14
	;; [unrolled: 4-line block ×4, first 2 shown]
	v_fmac_f16_e32 v33, 0x34f2, v21
	v_fmac_f16_e32 v9, 0x34f2, v34
	;; [unrolled: 1-line block ×4, first 2 shown]
	v_pack_b32_f16 v4, v4, v10
	v_pack_b32_f16 v0, v0, v5
	v_fma_f16 v5, v31, 0x3b9c, -v14
	v_fma_f16 v10, v13, 0xbb9c, -v18
	;; [unrolled: 1-line block ×4, first 2 shown]
	v_add_f16_e32 v14, v6, v8
	v_add_f16_e32 v21, v32, v16
	v_add_f16_e32 v15, v30, v9
	v_add_f16_e32 v22, v33, v17
	v_add_f16_e32 v18, v11, v5
	v_add_f16_e32 v23, v12, v10
	v_add_f16_e32 v20, v1, v7
	v_add_f16_e32 v24, v19, v13
	v_sub_f16_e32 v6, v6, v8
	v_sub_f16_e32 v8, v30, v9
	;; [unrolled: 1-line block ×8, first 2 shown]
	v_pack_b32_f16 v12, v14, v21
	v_pack_b32_f16 v13, v15, v22
	;; [unrolled: 1-line block ×8, first 2 shown]
	s_clause 0x9
	global_store_b32 v[2:3], v4, off offset:680
	global_store_b32 v[2:3], v12, off offset:1496
	global_store_b32 v[2:3], v13, off offset:2312
	global_store_b32 v[2:3], v14, off offset:3128
	global_store_b32 v[2:3], v15, off offset:3944
	global_store_b32 v[2:3], v0, off offset:4760
	global_store_b32 v[2:3], v6, off offset:5576
	global_store_b32 v[2:3], v7, off offset:6392
	global_store_b32 v[2:3], v5, off offset:7208
	global_store_b32 v[2:3], v1, off offset:8024
.LBB0_22:
	s_nop 0
	s_sendmsg sendmsg(MSG_DEALLOC_VGPRS)
	s_endpgm
	.section	.rodata,"a",@progbits
	.p2align	6, 0x0
	.amdhsa_kernel fft_rtc_fwd_len2040_factors_17_4_3_10_wgs_170_tpt_170_halfLds_half_ip_CI_unitstride_sbrr_dirReg
		.amdhsa_group_segment_fixed_size 0
		.amdhsa_private_segment_fixed_size 0
		.amdhsa_kernarg_size 88
		.amdhsa_user_sgpr_count 2
		.amdhsa_user_sgpr_dispatch_ptr 0
		.amdhsa_user_sgpr_queue_ptr 0
		.amdhsa_user_sgpr_kernarg_segment_ptr 1
		.amdhsa_user_sgpr_dispatch_id 0
		.amdhsa_user_sgpr_private_segment_size 0
		.amdhsa_wavefront_size32 1
		.amdhsa_uses_dynamic_stack 0
		.amdhsa_enable_private_segment 0
		.amdhsa_system_sgpr_workgroup_id_x 1
		.amdhsa_system_sgpr_workgroup_id_y 0
		.amdhsa_system_sgpr_workgroup_id_z 0
		.amdhsa_system_sgpr_workgroup_info 0
		.amdhsa_system_vgpr_workitem_id 0
		.amdhsa_next_free_vgpr 113
		.amdhsa_next_free_sgpr 32
		.amdhsa_reserve_vcc 1
		.amdhsa_float_round_mode_32 0
		.amdhsa_float_round_mode_16_64 0
		.amdhsa_float_denorm_mode_32 3
		.amdhsa_float_denorm_mode_16_64 3
		.amdhsa_fp16_overflow 0
		.amdhsa_workgroup_processor_mode 1
		.amdhsa_memory_ordered 1
		.amdhsa_forward_progress 0
		.amdhsa_round_robin_scheduling 0
		.amdhsa_exception_fp_ieee_invalid_op 0
		.amdhsa_exception_fp_denorm_src 0
		.amdhsa_exception_fp_ieee_div_zero 0
		.amdhsa_exception_fp_ieee_overflow 0
		.amdhsa_exception_fp_ieee_underflow 0
		.amdhsa_exception_fp_ieee_inexact 0
		.amdhsa_exception_int_div_zero 0
	.end_amdhsa_kernel
	.text
.Lfunc_end0:
	.size	fft_rtc_fwd_len2040_factors_17_4_3_10_wgs_170_tpt_170_halfLds_half_ip_CI_unitstride_sbrr_dirReg, .Lfunc_end0-fft_rtc_fwd_len2040_factors_17_4_3_10_wgs_170_tpt_170_halfLds_half_ip_CI_unitstride_sbrr_dirReg
                                        ; -- End function
	.section	.AMDGPU.csdata,"",@progbits
; Kernel info:
; codeLenInByte = 12844
; NumSgprs: 34
; NumVgprs: 113
; ScratchSize: 0
; MemoryBound: 0
; FloatMode: 240
; IeeeMode: 1
; LDSByteSize: 0 bytes/workgroup (compile time only)
; SGPRBlocks: 4
; VGPRBlocks: 14
; NumSGPRsForWavesPerEU: 34
; NumVGPRsForWavesPerEU: 113
; Occupancy: 12
; WaveLimiterHint : 1
; COMPUTE_PGM_RSRC2:SCRATCH_EN: 0
; COMPUTE_PGM_RSRC2:USER_SGPR: 2
; COMPUTE_PGM_RSRC2:TRAP_HANDLER: 0
; COMPUTE_PGM_RSRC2:TGID_X_EN: 1
; COMPUTE_PGM_RSRC2:TGID_Y_EN: 0
; COMPUTE_PGM_RSRC2:TGID_Z_EN: 0
; COMPUTE_PGM_RSRC2:TIDIG_COMP_CNT: 0
	.text
	.p2alignl 7, 3214868480
	.fill 96, 4, 3214868480
	.type	__hip_cuid_426b6c50bad36460,@object ; @__hip_cuid_426b6c50bad36460
	.section	.bss,"aw",@nobits
	.globl	__hip_cuid_426b6c50bad36460
__hip_cuid_426b6c50bad36460:
	.byte	0                               ; 0x0
	.size	__hip_cuid_426b6c50bad36460, 1

	.ident	"AMD clang version 19.0.0git (https://github.com/RadeonOpenCompute/llvm-project roc-6.4.0 25133 c7fe45cf4b819c5991fe208aaa96edf142730f1d)"
	.section	".note.GNU-stack","",@progbits
	.addrsig
	.addrsig_sym __hip_cuid_426b6c50bad36460
	.amdgpu_metadata
---
amdhsa.kernels:
  - .args:
      - .actual_access:  read_only
        .address_space:  global
        .offset:         0
        .size:           8
        .value_kind:     global_buffer
      - .offset:         8
        .size:           8
        .value_kind:     by_value
      - .actual_access:  read_only
        .address_space:  global
        .offset:         16
        .size:           8
        .value_kind:     global_buffer
      - .actual_access:  read_only
        .address_space:  global
        .offset:         24
        .size:           8
        .value_kind:     global_buffer
      - .offset:         32
        .size:           8
        .value_kind:     by_value
      - .actual_access:  read_only
        .address_space:  global
        .offset:         40
        .size:           8
        .value_kind:     global_buffer
      - .actual_access:  read_only
        .address_space:  global
        .offset:         48
        .size:           8
        .value_kind:     global_buffer
      - .offset:         56
        .size:           4
        .value_kind:     by_value
      - .actual_access:  read_only
        .address_space:  global
        .offset:         64
        .size:           8
        .value_kind:     global_buffer
      - .actual_access:  read_only
        .address_space:  global
        .offset:         72
        .size:           8
        .value_kind:     global_buffer
      - .address_space:  global
        .offset:         80
        .size:           8
        .value_kind:     global_buffer
    .group_segment_fixed_size: 0
    .kernarg_segment_align: 8
    .kernarg_segment_size: 88
    .language:       OpenCL C
    .language_version:
      - 2
      - 0
    .max_flat_workgroup_size: 170
    .name:           fft_rtc_fwd_len2040_factors_17_4_3_10_wgs_170_tpt_170_halfLds_half_ip_CI_unitstride_sbrr_dirReg
    .private_segment_fixed_size: 0
    .sgpr_count:     34
    .sgpr_spill_count: 0
    .symbol:         fft_rtc_fwd_len2040_factors_17_4_3_10_wgs_170_tpt_170_halfLds_half_ip_CI_unitstride_sbrr_dirReg.kd
    .uniform_work_group_size: 1
    .uses_dynamic_stack: false
    .vgpr_count:     113
    .vgpr_spill_count: 0
    .wavefront_size: 32
    .workgroup_processor_mode: 1
amdhsa.target:   amdgcn-amd-amdhsa--gfx1201
amdhsa.version:
  - 1
  - 2
...

	.end_amdgpu_metadata
